;; amdgpu-corpus repo=ROCm/rocSOLVER kind=compiled arch=gfx1100 opt=O3
	.text
	.amdgcn_target "amdgcn-amd-amdhsa--gfx1100"
	.amdhsa_code_object_version 6
	.section	.text._ZN9rocsolver6v33100L10reset_infoIiiiEEvPT_T0_T1_S4_,"axG",@progbits,_ZN9rocsolver6v33100L10reset_infoIiiiEEvPT_T0_T1_S4_,comdat
	.globl	_ZN9rocsolver6v33100L10reset_infoIiiiEEvPT_T0_T1_S4_ ; -- Begin function _ZN9rocsolver6v33100L10reset_infoIiiiEEvPT_T0_T1_S4_
	.p2align	8
	.type	_ZN9rocsolver6v33100L10reset_infoIiiiEEvPT_T0_T1_S4_,@function
_ZN9rocsolver6v33100L10reset_infoIiiiEEvPT_T0_T1_S4_: ; @_ZN9rocsolver6v33100L10reset_infoIiiiEEvPT_T0_T1_S4_
; %bb.0:
	s_clause 0x1
	s_load_b32 s2, s[0:1], 0x24
	s_load_b128 s[4:7], s[0:1], 0x8
	s_waitcnt lgkmcnt(0)
	s_and_b32 s2, s2, 0xffff
	s_delay_alu instid0(SALU_CYCLE_1) | instskip(SKIP_1) | instid1(VALU_DEP_1)
	v_mad_u64_u32 v[1:2], null, s15, s2, v[0:1]
	s_mov_b32 s2, exec_lo
	v_cmpx_gt_i32_e64 s4, v1
	s_cbranch_execz .LBB0_2
; %bb.1:
	s_load_b64 s[0:1], s[0:1], 0x0
	v_ashrrev_i32_e32 v2, 31, v1
	s_mov_b32 s2, s5
	s_delay_alu instid0(SALU_CYCLE_1) | instskip(NEXT) | instid1(VALU_DEP_2)
	v_mad_u64_u32 v[4:5], null, v1, s6, s[2:3]
	v_lshlrev_b64 v[2:3], 2, v[1:2]
	s_waitcnt lgkmcnt(0)
	s_delay_alu instid0(VALU_DEP_1) | instskip(NEXT) | instid1(VALU_DEP_2)
	v_add_co_u32 v0, vcc_lo, s0, v2
	v_add_co_ci_u32_e32 v1, vcc_lo, s1, v3, vcc_lo
	global_store_b32 v[0:1], v4, off
.LBB0_2:
	s_nop 0
	s_sendmsg sendmsg(MSG_DEALLOC_VGPRS)
	s_endpgm
	.section	.rodata,"a",@progbits
	.p2align	6, 0x0
	.amdhsa_kernel _ZN9rocsolver6v33100L10reset_infoIiiiEEvPT_T0_T1_S4_
		.amdhsa_group_segment_fixed_size 0
		.amdhsa_private_segment_fixed_size 0
		.amdhsa_kernarg_size 280
		.amdhsa_user_sgpr_count 15
		.amdhsa_user_sgpr_dispatch_ptr 0
		.amdhsa_user_sgpr_queue_ptr 0
		.amdhsa_user_sgpr_kernarg_segment_ptr 1
		.amdhsa_user_sgpr_dispatch_id 0
		.amdhsa_user_sgpr_private_segment_size 0
		.amdhsa_wavefront_size32 1
		.amdhsa_uses_dynamic_stack 0
		.amdhsa_enable_private_segment 0
		.amdhsa_system_sgpr_workgroup_id_x 1
		.amdhsa_system_sgpr_workgroup_id_y 0
		.amdhsa_system_sgpr_workgroup_id_z 0
		.amdhsa_system_sgpr_workgroup_info 0
		.amdhsa_system_vgpr_workitem_id 0
		.amdhsa_next_free_vgpr 6
		.amdhsa_next_free_sgpr 16
		.amdhsa_reserve_vcc 1
		.amdhsa_float_round_mode_32 0
		.amdhsa_float_round_mode_16_64 0
		.amdhsa_float_denorm_mode_32 3
		.amdhsa_float_denorm_mode_16_64 3
		.amdhsa_dx10_clamp 1
		.amdhsa_ieee_mode 1
		.amdhsa_fp16_overflow 0
		.amdhsa_workgroup_processor_mode 1
		.amdhsa_memory_ordered 1
		.amdhsa_forward_progress 0
		.amdhsa_shared_vgpr_count 0
		.amdhsa_exception_fp_ieee_invalid_op 0
		.amdhsa_exception_fp_denorm_src 0
		.amdhsa_exception_fp_ieee_div_zero 0
		.amdhsa_exception_fp_ieee_overflow 0
		.amdhsa_exception_fp_ieee_underflow 0
		.amdhsa_exception_fp_ieee_inexact 0
		.amdhsa_exception_int_div_zero 0
	.end_amdhsa_kernel
	.section	.text._ZN9rocsolver6v33100L10reset_infoIiiiEEvPT_T0_T1_S4_,"axG",@progbits,_ZN9rocsolver6v33100L10reset_infoIiiiEEvPT_T0_T1_S4_,comdat
.Lfunc_end0:
	.size	_ZN9rocsolver6v33100L10reset_infoIiiiEEvPT_T0_T1_S4_, .Lfunc_end0-_ZN9rocsolver6v33100L10reset_infoIiiiEEvPT_T0_T1_S4_
                                        ; -- End function
	.section	.AMDGPU.csdata,"",@progbits
; Kernel info:
; codeLenInByte = 136
; NumSgprs: 18
; NumVgprs: 6
; ScratchSize: 0
; MemoryBound: 0
; FloatMode: 240
; IeeeMode: 1
; LDSByteSize: 0 bytes/workgroup (compile time only)
; SGPRBlocks: 2
; VGPRBlocks: 0
; NumSGPRsForWavesPerEU: 18
; NumVGPRsForWavesPerEU: 6
; Occupancy: 16
; WaveLimiterHint : 0
; COMPUTE_PGM_RSRC2:SCRATCH_EN: 0
; COMPUTE_PGM_RSRC2:USER_SGPR: 15
; COMPUTE_PGM_RSRC2:TRAP_HANDLER: 0
; COMPUTE_PGM_RSRC2:TGID_X_EN: 1
; COMPUTE_PGM_RSRC2:TGID_Y_EN: 0
; COMPUTE_PGM_RSRC2:TGID_Z_EN: 0
; COMPUTE_PGM_RSRC2:TIDIG_COMP_CNT: 0
	.section	.text._ZN9rocsolver6v33100L10reset_infoIfiiEEvPT_T0_T1_S4_,"axG",@progbits,_ZN9rocsolver6v33100L10reset_infoIfiiEEvPT_T0_T1_S4_,comdat
	.globl	_ZN9rocsolver6v33100L10reset_infoIfiiEEvPT_T0_T1_S4_ ; -- Begin function _ZN9rocsolver6v33100L10reset_infoIfiiEEvPT_T0_T1_S4_
	.p2align	8
	.type	_ZN9rocsolver6v33100L10reset_infoIfiiEEvPT_T0_T1_S4_,@function
_ZN9rocsolver6v33100L10reset_infoIfiiEEvPT_T0_T1_S4_: ; @_ZN9rocsolver6v33100L10reset_infoIfiiEEvPT_T0_T1_S4_
; %bb.0:
	s_clause 0x1
	s_load_b32 s2, s[0:1], 0x24
	s_load_b128 s[4:7], s[0:1], 0x8
	s_waitcnt lgkmcnt(0)
	s_and_b32 s2, s2, 0xffff
	s_delay_alu instid0(SALU_CYCLE_1) | instskip(SKIP_1) | instid1(VALU_DEP_1)
	v_mad_u64_u32 v[1:2], null, s15, s2, v[0:1]
	s_mov_b32 s2, exec_lo
	v_cmpx_gt_i32_e64 s4, v1
	s_cbranch_execz .LBB1_2
; %bb.1:
	s_load_b64 s[0:1], s[0:1], 0x0
	v_mul_lo_u32 v0, v1, s6
	v_ashrrev_i32_e32 v2, 31, v1
	v_cvt_f32_i32_e32 v3, s5
	s_delay_alu instid0(VALU_DEP_3) | instskip(NEXT) | instid1(VALU_DEP_3)
	v_cvt_f32_i32_e32 v4, v0
	v_lshlrev_b64 v[0:1], 2, v[1:2]
	s_delay_alu instid0(VALU_DEP_2) | instskip(SKIP_1) | instid1(VALU_DEP_2)
	v_add_f32_e32 v2, v3, v4
	s_waitcnt lgkmcnt(0)
	v_add_co_u32 v0, vcc_lo, s0, v0
	s_delay_alu instid0(VALU_DEP_3)
	v_add_co_ci_u32_e32 v1, vcc_lo, s1, v1, vcc_lo
	global_store_b32 v[0:1], v2, off
.LBB1_2:
	s_nop 0
	s_sendmsg sendmsg(MSG_DEALLOC_VGPRS)
	s_endpgm
	.section	.rodata,"a",@progbits
	.p2align	6, 0x0
	.amdhsa_kernel _ZN9rocsolver6v33100L10reset_infoIfiiEEvPT_T0_T1_S4_
		.amdhsa_group_segment_fixed_size 0
		.amdhsa_private_segment_fixed_size 0
		.amdhsa_kernarg_size 280
		.amdhsa_user_sgpr_count 15
		.amdhsa_user_sgpr_dispatch_ptr 0
		.amdhsa_user_sgpr_queue_ptr 0
		.amdhsa_user_sgpr_kernarg_segment_ptr 1
		.amdhsa_user_sgpr_dispatch_id 0
		.amdhsa_user_sgpr_private_segment_size 0
		.amdhsa_wavefront_size32 1
		.amdhsa_uses_dynamic_stack 0
		.amdhsa_enable_private_segment 0
		.amdhsa_system_sgpr_workgroup_id_x 1
		.amdhsa_system_sgpr_workgroup_id_y 0
		.amdhsa_system_sgpr_workgroup_id_z 0
		.amdhsa_system_sgpr_workgroup_info 0
		.amdhsa_system_vgpr_workitem_id 0
		.amdhsa_next_free_vgpr 5
		.amdhsa_next_free_sgpr 16
		.amdhsa_reserve_vcc 1
		.amdhsa_float_round_mode_32 0
		.amdhsa_float_round_mode_16_64 0
		.amdhsa_float_denorm_mode_32 3
		.amdhsa_float_denorm_mode_16_64 3
		.amdhsa_dx10_clamp 1
		.amdhsa_ieee_mode 1
		.amdhsa_fp16_overflow 0
		.amdhsa_workgroup_processor_mode 1
		.amdhsa_memory_ordered 1
		.amdhsa_forward_progress 0
		.amdhsa_shared_vgpr_count 0
		.amdhsa_exception_fp_ieee_invalid_op 0
		.amdhsa_exception_fp_denorm_src 0
		.amdhsa_exception_fp_ieee_div_zero 0
		.amdhsa_exception_fp_ieee_overflow 0
		.amdhsa_exception_fp_ieee_underflow 0
		.amdhsa_exception_fp_ieee_inexact 0
		.amdhsa_exception_int_div_zero 0
	.end_amdhsa_kernel
	.section	.text._ZN9rocsolver6v33100L10reset_infoIfiiEEvPT_T0_T1_S4_,"axG",@progbits,_ZN9rocsolver6v33100L10reset_infoIfiiEEvPT_T0_T1_S4_,comdat
.Lfunc_end1:
	.size	_ZN9rocsolver6v33100L10reset_infoIfiiEEvPT_T0_T1_S4_, .Lfunc_end1-_ZN9rocsolver6v33100L10reset_infoIfiiEEvPT_T0_T1_S4_
                                        ; -- End function
	.section	.AMDGPU.csdata,"",@progbits
; Kernel info:
; codeLenInByte = 148
; NumSgprs: 18
; NumVgprs: 5
; ScratchSize: 0
; MemoryBound: 0
; FloatMode: 240
; IeeeMode: 1
; LDSByteSize: 0 bytes/workgroup (compile time only)
; SGPRBlocks: 2
; VGPRBlocks: 0
; NumSGPRsForWavesPerEU: 18
; NumVGPRsForWavesPerEU: 5
; Occupancy: 16
; WaveLimiterHint : 0
; COMPUTE_PGM_RSRC2:SCRATCH_EN: 0
; COMPUTE_PGM_RSRC2:USER_SGPR: 15
; COMPUTE_PGM_RSRC2:TRAP_HANDLER: 0
; COMPUTE_PGM_RSRC2:TGID_X_EN: 1
; COMPUTE_PGM_RSRC2:TGID_Y_EN: 0
; COMPUTE_PGM_RSRC2:TGID_Z_EN: 0
; COMPUTE_PGM_RSRC2:TIDIG_COMP_CNT: 0
	.section	.text._ZN9rocsolver6v33100L8copy_matIfPfS2_NS0_7no_maskEEEviiT0_iilT1_iilT2_13rocblas_fill_17rocblas_diagonal_,"axG",@progbits,_ZN9rocsolver6v33100L8copy_matIfPfS2_NS0_7no_maskEEEviiT0_iilT1_iilT2_13rocblas_fill_17rocblas_diagonal_,comdat
	.globl	_ZN9rocsolver6v33100L8copy_matIfPfS2_NS0_7no_maskEEEviiT0_iilT1_iilT2_13rocblas_fill_17rocblas_diagonal_ ; -- Begin function _ZN9rocsolver6v33100L8copy_matIfPfS2_NS0_7no_maskEEEviiT0_iilT1_iilT2_13rocblas_fill_17rocblas_diagonal_
	.p2align	8
	.type	_ZN9rocsolver6v33100L8copy_matIfPfS2_NS0_7no_maskEEEviiT0_iilT1_iilT2_13rocblas_fill_17rocblas_diagonal_,@function
_ZN9rocsolver6v33100L8copy_matIfPfS2_NS0_7no_maskEEEviiT0_iilT1_iilT2_13rocblas_fill_17rocblas_diagonal_: ; @_ZN9rocsolver6v33100L8copy_matIfPfS2_NS0_7no_maskEEEviiT0_iilT1_iilT2_13rocblas_fill_17rocblas_diagonal_
; %bb.0:
	s_clause 0x1
	s_load_b32 s4, s[0:1], 0x54
	s_load_b64 s[2:3], s[0:1], 0x0
	v_and_b32_e32 v2, 0x3ff, v0
	v_bfe_u32 v3, v0, 10, 10
	s_waitcnt lgkmcnt(0)
	s_lshr_b32 s5, s4, 16
	s_and_b32 s4, s4, 0xffff
	s_delay_alu instid0(VALU_DEP_1) | instid1(SALU_CYCLE_1)
	v_mad_u64_u32 v[0:1], null, s13, s4, v[2:3]
	v_mad_u64_u32 v[1:2], null, s14, s5, v[3:4]
	s_delay_alu instid0(VALU_DEP_2) | instskip(NEXT) | instid1(VALU_DEP_2)
	v_cmp_gt_u32_e32 vcc_lo, s2, v0
	v_cmp_gt_u32_e64 s2, s3, v1
	s_delay_alu instid0(VALU_DEP_1) | instskip(NEXT) | instid1(SALU_CYCLE_1)
	s_and_b32 s2, s2, vcc_lo
	s_and_saveexec_b32 s3, s2
	s_cbranch_execz .LBB2_14
; %bb.1:
	s_load_b64 s[4:5], s[0:1], 0x3c
	s_waitcnt lgkmcnt(0)
	s_cmpk_lt_i32 s4, 0x7a
	s_cbranch_scc1 .LBB2_4
; %bb.2:
	s_cmpk_gt_i32 s4, 0x7a
	s_cbranch_scc0 .LBB2_5
; %bb.3:
	s_cmpk_lg_i32 s4, 0x7b
	s_mov_b32 s3, -1
	s_cselect_b32 s6, -1, 0
	s_cbranch_execz .LBB2_6
	s_branch .LBB2_7
.LBB2_4:
	s_mov_b32 s6, 0
	s_mov_b32 s3, 0
	s_cbranch_execnz .LBB2_8
	s_branch .LBB2_10
.LBB2_5:
	s_mov_b32 s3, 0
	s_mov_b32 s6, 0
.LBB2_6:
	v_cmp_gt_u32_e32 vcc_lo, v0, v1
	v_cmp_le_u32_e64 s2, v0, v1
	s_and_not1_b32 s3, s3, exec_lo
	s_and_not1_b32 s6, s6, exec_lo
	s_and_b32 s7, vcc_lo, exec_lo
	s_delay_alu instid0(VALU_DEP_1)
	s_and_b32 s2, s2, exec_lo
	s_or_b32 s3, s3, s7
	s_or_b32 s6, s6, s2
.LBB2_7:
	s_branch .LBB2_10
.LBB2_8:
	s_cmpk_eq_i32 s4, 0x79
	s_mov_b32 s6, -1
	s_cbranch_scc0 .LBB2_10
; %bb.9:
	v_cmp_gt_u32_e32 vcc_lo, v1, v0
	v_cmp_le_u32_e64 s2, v1, v0
	s_and_not1_b32 s3, s3, exec_lo
	s_and_b32 s4, vcc_lo, exec_lo
	s_delay_alu instid0(VALU_DEP_1)
	s_or_not1_b32 s6, s2, exec_lo
	s_or_b32 s3, s3, s4
.LBB2_10:
	s_and_saveexec_b32 s2, s6
; %bb.11:
	v_cmp_eq_u32_e32 vcc_lo, v0, v1
	s_cmpk_eq_i32 s5, 0x83
	s_cselect_b32 s4, -1, 0
	s_and_not1_b32 s3, s3, exec_lo
	s_and_b32 s4, s4, vcc_lo
	s_delay_alu instid0(SALU_CYCLE_1) | instskip(NEXT) | instid1(SALU_CYCLE_1)
	s_and_b32 s4, s4, exec_lo
	s_or_b32 s3, s3, s4
; %bb.12:
	s_or_b32 exec_lo, exec_lo, s2
	s_delay_alu instid0(SALU_CYCLE_1)
	s_and_b32 exec_lo, exec_lo, s3
	s_cbranch_execz .LBB2_14
; %bb.13:
	s_load_b256 s[4:11], s[0:1], 0x8
	s_waitcnt lgkmcnt(0)
	v_mad_u64_u32 v[2:3], null, v1, s7, v[0:1]
	s_mul_i32 s2, s15, s9
	s_mul_hi_u32 s9, s15, s8
	v_mov_b32_e32 v3, 0
	s_mul_i32 s8, s15, s8
	s_add_i32 s9, s9, s2
	s_ashr_i32 s3, s6, 31
	s_lshl_b64 s[8:9], s[8:9], 2
	s_mov_b32 s2, s6
	v_lshlrev_b64 v[4:5], 2, v[2:3]
	s_add_u32 s4, s4, s8
	s_addc_u32 s5, s5, s9
	s_lshl_b64 s[2:3], s[2:3], 2
	s_delay_alu instid0(SALU_CYCLE_1)
	s_add_u32 s2, s4, s2
	s_addc_u32 s3, s5, s3
	v_add_co_u32 v4, vcc_lo, s2, v4
	v_add_co_ci_u32_e32 v5, vcc_lo, s3, v5, vcc_lo
	s_load_b128 s[0:3], s[0:1], 0x28
	global_load_b32 v2, v[4:5], off
	s_waitcnt lgkmcnt(0)
	v_mad_u64_u32 v[4:5], null, v1, s1, v[0:1]
	s_mul_i32 s3, s15, s3
	s_mul_hi_u32 s4, s15, s2
	v_mov_b32_e32 v5, v3
	s_add_i32 s3, s4, s3
	s_mul_i32 s2, s15, s2
	s_ashr_i32 s5, s0, 31
	s_lshl_b64 s[2:3], s[2:3], 2
	s_mov_b32 s4, s0
	v_lshlrev_b64 v[0:1], 2, v[4:5]
	s_add_u32 s2, s10, s2
	s_addc_u32 s3, s11, s3
	s_lshl_b64 s[0:1], s[4:5], 2
	s_delay_alu instid0(SALU_CYCLE_1)
	s_add_u32 s0, s2, s0
	s_addc_u32 s1, s3, s1
	v_add_co_u32 v0, vcc_lo, s0, v0
	v_add_co_ci_u32_e32 v1, vcc_lo, s1, v1, vcc_lo
	s_waitcnt vmcnt(0)
	global_store_b32 v[0:1], v2, off
.LBB2_14:
	s_nop 0
	s_sendmsg sendmsg(MSG_DEALLOC_VGPRS)
	s_endpgm
	.section	.rodata,"a",@progbits
	.p2align	6, 0x0
	.amdhsa_kernel _ZN9rocsolver6v33100L8copy_matIfPfS2_NS0_7no_maskEEEviiT0_iilT1_iilT2_13rocblas_fill_17rocblas_diagonal_
		.amdhsa_group_segment_fixed_size 0
		.amdhsa_private_segment_fixed_size 0
		.amdhsa_kernarg_size 328
		.amdhsa_user_sgpr_count 13
		.amdhsa_user_sgpr_dispatch_ptr 0
		.amdhsa_user_sgpr_queue_ptr 0
		.amdhsa_user_sgpr_kernarg_segment_ptr 1
		.amdhsa_user_sgpr_dispatch_id 0
		.amdhsa_user_sgpr_private_segment_size 0
		.amdhsa_wavefront_size32 1
		.amdhsa_uses_dynamic_stack 0
		.amdhsa_enable_private_segment 0
		.amdhsa_system_sgpr_workgroup_id_x 1
		.amdhsa_system_sgpr_workgroup_id_y 1
		.amdhsa_system_sgpr_workgroup_id_z 1
		.amdhsa_system_sgpr_workgroup_info 0
		.amdhsa_system_vgpr_workitem_id 1
		.amdhsa_next_free_vgpr 6
		.amdhsa_next_free_sgpr 16
		.amdhsa_reserve_vcc 1
		.amdhsa_float_round_mode_32 0
		.amdhsa_float_round_mode_16_64 0
		.amdhsa_float_denorm_mode_32 3
		.amdhsa_float_denorm_mode_16_64 3
		.amdhsa_dx10_clamp 1
		.amdhsa_ieee_mode 1
		.amdhsa_fp16_overflow 0
		.amdhsa_workgroup_processor_mode 1
		.amdhsa_memory_ordered 1
		.amdhsa_forward_progress 0
		.amdhsa_shared_vgpr_count 0
		.amdhsa_exception_fp_ieee_invalid_op 0
		.amdhsa_exception_fp_denorm_src 0
		.amdhsa_exception_fp_ieee_div_zero 0
		.amdhsa_exception_fp_ieee_overflow 0
		.amdhsa_exception_fp_ieee_underflow 0
		.amdhsa_exception_fp_ieee_inexact 0
		.amdhsa_exception_int_div_zero 0
	.end_amdhsa_kernel
	.section	.text._ZN9rocsolver6v33100L8copy_matIfPfS2_NS0_7no_maskEEEviiT0_iilT1_iilT2_13rocblas_fill_17rocblas_diagonal_,"axG",@progbits,_ZN9rocsolver6v33100L8copy_matIfPfS2_NS0_7no_maskEEEviiT0_iilT1_iilT2_13rocblas_fill_17rocblas_diagonal_,comdat
.Lfunc_end2:
	.size	_ZN9rocsolver6v33100L8copy_matIfPfS2_NS0_7no_maskEEEviiT0_iilT1_iilT2_13rocblas_fill_17rocblas_diagonal_, .Lfunc_end2-_ZN9rocsolver6v33100L8copy_matIfPfS2_NS0_7no_maskEEEviiT0_iilT1_iilT2_13rocblas_fill_17rocblas_diagonal_
                                        ; -- End function
	.section	.AMDGPU.csdata,"",@progbits
; Kernel info:
; codeLenInByte = 540
; NumSgprs: 18
; NumVgprs: 6
; ScratchSize: 0
; MemoryBound: 0
; FloatMode: 240
; IeeeMode: 1
; LDSByteSize: 0 bytes/workgroup (compile time only)
; SGPRBlocks: 2
; VGPRBlocks: 0
; NumSGPRsForWavesPerEU: 18
; NumVGPRsForWavesPerEU: 6
; Occupancy: 16
; WaveLimiterHint : 0
; COMPUTE_PGM_RSRC2:SCRATCH_EN: 0
; COMPUTE_PGM_RSRC2:USER_SGPR: 13
; COMPUTE_PGM_RSRC2:TRAP_HANDLER: 0
; COMPUTE_PGM_RSRC2:TGID_X_EN: 1
; COMPUTE_PGM_RSRC2:TGID_Y_EN: 1
; COMPUTE_PGM_RSRC2:TGID_Z_EN: 1
; COMPUTE_PGM_RSRC2:TIDIG_COMP_CNT: 1
	.section	.text._ZN9rocsolver6v33100L18stebz_case1_kernelIfPfEEv15rocblas_erange_T_S4_T0_ilPiS6_PS4_lS6_lS6_li,"axG",@progbits,_ZN9rocsolver6v33100L18stebz_case1_kernelIfPfEEv15rocblas_erange_T_S4_T0_ilPiS6_PS4_lS6_lS6_li,comdat
	.globl	_ZN9rocsolver6v33100L18stebz_case1_kernelIfPfEEv15rocblas_erange_T_S4_T0_ilPiS6_PS4_lS6_lS6_li ; -- Begin function _ZN9rocsolver6v33100L18stebz_case1_kernelIfPfEEv15rocblas_erange_T_S4_T0_ilPiS6_PS4_lS6_lS6_li
	.p2align	8
	.type	_ZN9rocsolver6v33100L18stebz_case1_kernelIfPfEEv15rocblas_erange_T_S4_T0_ilPiS6_PS4_lS6_lS6_li,@function
_ZN9rocsolver6v33100L18stebz_case1_kernelIfPfEEv15rocblas_erange_T_S4_T0_ilPiS6_PS4_lS6_lS6_li: ; @_ZN9rocsolver6v33100L18stebz_case1_kernelIfPfEEv15rocblas_erange_T_S4_T0_ilPiS6_PS4_lS6_lS6_li
; %bb.0:
	s_clause 0x1
	s_load_b32 s2, s[0:1], 0x7c
	s_load_b32 s3, s[0:1], 0x68
	s_waitcnt lgkmcnt(0)
	s_and_b32 s2, s2, 0xffff
	s_delay_alu instid0(SALU_CYCLE_1) | instskip(SKIP_1) | instid1(VALU_DEP_1)
	v_mad_u64_u32 v[1:2], null, s15, s2, v[0:1]
	s_mov_b32 s2, exec_lo
	v_cmpx_gt_i32_e64 s3, v1
	s_cbranch_execz .LBB3_7
; %bb.1:
	s_clause 0x1
	s_load_b512 s[4:19], s[0:1], 0x20
	s_load_b32 s2, s[0:1], 0x18
	v_ashrrev_i32_e32 v2, 31, v1
	s_load_b64 s[20:21], s[0:1], 0x10
	v_mov_b32_e32 v9, 1
	s_waitcnt lgkmcnt(0)
	v_mul_lo_u32 v0, v1, s5
	v_mul_lo_u32 v5, v2, s4
	v_mad_u64_u32 v[3:4], null, v1, s4, 0
	s_ashr_i32 s3, s2, 31
	s_delay_alu instid0(SALU_CYCLE_1) | instskip(NEXT) | instid1(SALU_CYCLE_1)
	s_lshl_b64 s[2:3], s[2:3], 2
	s_add_u32 s2, s2, s20
	s_addc_u32 s3, s3, s21
	s_delay_alu instid0(VALU_DEP_1) | instskip(NEXT) | instid1(VALU_DEP_1)
	v_add3_u32 v4, v4, v0, v5
	v_lshlrev_b64 v[3:4], 2, v[3:4]
	s_delay_alu instid0(VALU_DEP_1) | instskip(NEXT) | instid1(VALU_DEP_2)
	v_add_co_u32 v3, vcc_lo, s2, v3
	v_add_co_ci_u32_e32 v4, vcc_lo, s3, v4, vcc_lo
	s_load_b64 s[2:3], s[0:1], 0x60
	global_load_b32 v0, v[3:4], off
	s_waitcnt lgkmcnt(0)
	v_mul_lo_u32 v3, v1, s3
	v_mul_lo_u32 v4, v2, s2
	v_mad_u64_u32 v[5:6], null, v1, s2, 0
	s_load_b128 s[0:3], s[0:1], 0x0
	s_delay_alu instid0(VALU_DEP_1) | instskip(SKIP_1) | instid1(VALU_DEP_2)
	v_add3_u32 v6, v6, v3, v4
	v_lshlrev_b64 v[3:4], 2, v[1:2]
	v_lshlrev_b64 v[5:6], 2, v[5:6]
	s_delay_alu instid0(VALU_DEP_2) | instskip(NEXT) | instid1(VALU_DEP_3)
	v_add_co_u32 v7, vcc_lo, s8, v3
	v_add_co_ci_u32_e32 v8, vcc_lo, s9, v4, vcc_lo
	s_delay_alu instid0(VALU_DEP_3) | instskip(NEXT) | instid1(VALU_DEP_4)
	v_add_co_u32 v5, vcc_lo, s18, v5
	v_add_co_ci_u32_e32 v6, vcc_lo, s19, v6, vcc_lo
	s_waitcnt lgkmcnt(0)
	s_cmpk_lg_i32 s0, 0xe8
	global_store_b32 v[7:8], v9, off
	s_cselect_b32 s3, -1, 0
	global_store_b32 v[5:6], v9, off
	s_and_b32 vcc_lo, exec_lo, s3
	s_cbranch_vccnz .LBB3_3
; %bb.2:
	s_waitcnt vmcnt(0)
	v_cmp_nge_f32_e32 vcc_lo, s1, v0
	v_cmp_nlt_f32_e64 s0, s2, v0
	s_and_not1_b32 s1, s3, exec_lo
	s_delay_alu instid0(VALU_DEP_1) | instskip(NEXT) | instid1(SALU_CYCLE_1)
	s_and_b32 s0, vcc_lo, s0
	s_and_b32 s2, s0, exec_lo
	s_mov_b32 s0, -1
	s_or_b32 s3, s1, s2
	s_delay_alu instid0(SALU_CYCLE_1) | instskip(NEXT) | instid1(SALU_CYCLE_1)
	s_and_saveexec_b32 s1, s3
	s_xor_b32 s1, exec_lo, s1
	s_cbranch_execnz .LBB3_4
	s_branch .LBB3_5
.LBB3_3:
	s_mov_b32 s0, 0
	s_and_saveexec_b32 s1, s3
	s_delay_alu instid0(SALU_CYCLE_1)
	s_xor_b32 s1, exec_lo, s1
	s_cbranch_execz .LBB3_5
.LBB3_4:
	v_mul_lo_u32 v9, v2, s12
	v_mul_lo_u32 v10, v1, s13
	v_mad_u64_u32 v[5:6], null, v1, s12, 0
	v_mul_lo_u32 v2, v2, s16
	v_mul_lo_u32 v11, v1, s17
	v_mad_u64_u32 v[7:8], null, v1, s16, 0
	s_and_not1_b32 s0, s0, exec_lo
	s_delay_alu instid0(VALU_DEP_4) | instskip(SKIP_1) | instid1(VALU_DEP_3)
	v_add3_u32 v6, v6, v10, v9
	v_mov_b32_e32 v9, 1
	v_add3_u32 v8, v8, v11, v2
	s_delay_alu instid0(VALU_DEP_3) | instskip(SKIP_2) | instid1(VALU_DEP_4)
	v_lshlrev_b64 v[1:2], 2, v[5:6]
	v_add_co_u32 v5, vcc_lo, s6, v3
	v_add_co_ci_u32_e32 v6, vcc_lo, s7, v4, vcc_lo
	v_lshlrev_b64 v[7:8], 2, v[7:8]
	s_delay_alu instid0(VALU_DEP_4)
	v_add_co_u32 v1, vcc_lo, s10, v1
	v_add_co_ci_u32_e32 v2, vcc_lo, s11, v2, vcc_lo
	global_store_b32 v[5:6], v9, off
	s_waitcnt vmcnt(0)
	global_store_b32 v[1:2], v0, off
	v_add_co_u32 v7, vcc_lo, s14, v7
	v_add_co_ci_u32_e32 v8, vcc_lo, s15, v8, vcc_lo
	global_store_b32 v[7:8], v9, off
.LBB3_5:
	s_or_b32 exec_lo, exec_lo, s1
	s_delay_alu instid0(SALU_CYCLE_1)
	s_and_b32 exec_lo, exec_lo, s0
	s_cbranch_execz .LBB3_7
; %bb.6:
	s_waitcnt vmcnt(0)
	v_add_co_u32 v0, vcc_lo, s6, v3
	v_add_co_ci_u32_e32 v1, vcc_lo, s7, v4, vcc_lo
	v_mov_b32_e32 v2, 0
	global_store_b32 v[0:1], v2, off
.LBB3_7:
	s_nop 0
	s_sendmsg sendmsg(MSG_DEALLOC_VGPRS)
	s_endpgm
	.section	.rodata,"a",@progbits
	.p2align	6, 0x0
	.amdhsa_kernel _ZN9rocsolver6v33100L18stebz_case1_kernelIfPfEEv15rocblas_erange_T_S4_T0_ilPiS6_PS4_lS6_lS6_li
		.amdhsa_group_segment_fixed_size 0
		.amdhsa_private_segment_fixed_size 0
		.amdhsa_kernarg_size 368
		.amdhsa_user_sgpr_count 15
		.amdhsa_user_sgpr_dispatch_ptr 0
		.amdhsa_user_sgpr_queue_ptr 0
		.amdhsa_user_sgpr_kernarg_segment_ptr 1
		.amdhsa_user_sgpr_dispatch_id 0
		.amdhsa_user_sgpr_private_segment_size 0
		.amdhsa_wavefront_size32 1
		.amdhsa_uses_dynamic_stack 0
		.amdhsa_enable_private_segment 0
		.amdhsa_system_sgpr_workgroup_id_x 1
		.amdhsa_system_sgpr_workgroup_id_y 0
		.amdhsa_system_sgpr_workgroup_id_z 0
		.amdhsa_system_sgpr_workgroup_info 0
		.amdhsa_system_vgpr_workitem_id 0
		.amdhsa_next_free_vgpr 12
		.amdhsa_next_free_sgpr 22
		.amdhsa_reserve_vcc 1
		.amdhsa_float_round_mode_32 0
		.amdhsa_float_round_mode_16_64 0
		.amdhsa_float_denorm_mode_32 3
		.amdhsa_float_denorm_mode_16_64 3
		.amdhsa_dx10_clamp 1
		.amdhsa_ieee_mode 1
		.amdhsa_fp16_overflow 0
		.amdhsa_workgroup_processor_mode 1
		.amdhsa_memory_ordered 1
		.amdhsa_forward_progress 0
		.amdhsa_shared_vgpr_count 0
		.amdhsa_exception_fp_ieee_invalid_op 0
		.amdhsa_exception_fp_denorm_src 0
		.amdhsa_exception_fp_ieee_div_zero 0
		.amdhsa_exception_fp_ieee_overflow 0
		.amdhsa_exception_fp_ieee_underflow 0
		.amdhsa_exception_fp_ieee_inexact 0
		.amdhsa_exception_int_div_zero 0
	.end_amdhsa_kernel
	.section	.text._ZN9rocsolver6v33100L18stebz_case1_kernelIfPfEEv15rocblas_erange_T_S4_T0_ilPiS6_PS4_lS6_lS6_li,"axG",@progbits,_ZN9rocsolver6v33100L18stebz_case1_kernelIfPfEEv15rocblas_erange_T_S4_T0_ilPiS6_PS4_lS6_lS6_li,comdat
.Lfunc_end3:
	.size	_ZN9rocsolver6v33100L18stebz_case1_kernelIfPfEEv15rocblas_erange_T_S4_T0_ilPiS6_PS4_lS6_lS6_li, .Lfunc_end3-_ZN9rocsolver6v33100L18stebz_case1_kernelIfPfEEv15rocblas_erange_T_S4_T0_ilPiS6_PS4_lS6_lS6_li
                                        ; -- End function
	.section	.AMDGPU.csdata,"",@progbits
; Kernel info:
; codeLenInByte = 628
; NumSgprs: 24
; NumVgprs: 12
; ScratchSize: 0
; MemoryBound: 0
; FloatMode: 240
; IeeeMode: 1
; LDSByteSize: 0 bytes/workgroup (compile time only)
; SGPRBlocks: 2
; VGPRBlocks: 1
; NumSGPRsForWavesPerEU: 24
; NumVGPRsForWavesPerEU: 12
; Occupancy: 16
; WaveLimiterHint : 0
; COMPUTE_PGM_RSRC2:SCRATCH_EN: 0
; COMPUTE_PGM_RSRC2:USER_SGPR: 15
; COMPUTE_PGM_RSRC2:TRAP_HANDLER: 0
; COMPUTE_PGM_RSRC2:TGID_X_EN: 1
; COMPUTE_PGM_RSRC2:TGID_Y_EN: 0
; COMPUTE_PGM_RSRC2:TGID_Z_EN: 0
; COMPUTE_PGM_RSRC2:TIDIG_COMP_CNT: 0
	.section	.text._ZN9rocsolver6v33100L22stebz_splitting_kernelIfPfEEv15rocblas_erange_iT_S4_iiT0_iiS5_iiPiPS4_lS6_lS6_S7_S7_S7_S7_S6_S4_S4_,"axG",@progbits,_ZN9rocsolver6v33100L22stebz_splitting_kernelIfPfEEv15rocblas_erange_iT_S4_iiT0_iiS5_iiPiPS4_lS6_lS6_S7_S7_S7_S7_S6_S4_S4_,comdat
	.globl	_ZN9rocsolver6v33100L22stebz_splitting_kernelIfPfEEv15rocblas_erange_iT_S4_iiT0_iiS5_iiPiPS4_lS6_lS6_S7_S7_S7_S7_S6_S4_S4_ ; -- Begin function _ZN9rocsolver6v33100L22stebz_splitting_kernelIfPfEEv15rocblas_erange_iT_S4_iiT0_iiS5_iiPiPS4_lS6_lS6_S7_S7_S7_S7_S6_S4_S4_
	.p2align	8
	.type	_ZN9rocsolver6v33100L22stebz_splitting_kernelIfPfEEv15rocblas_erange_iT_S4_iiT0_iiS5_iiPiPS4_lS6_lS6_S7_S7_S7_S7_S6_S4_S4_,@function
_ZN9rocsolver6v33100L22stebz_splitting_kernelIfPfEEv15rocblas_erange_iT_S4_iiT0_iiS5_iiPiPS4_lS6_lS6_S7_S7_S7_S7_S6_S4_S4_: ; @_ZN9rocsolver6v33100L22stebz_splitting_kernelIfPfEEv15rocblas_erange_iT_S4_iiT0_iiS5_iiPiPS4_lS6_lS6_S7_S7_S7_S7_S6_S4_S4_
; %bb.0:
	s_clause 0x1
	s_load_b128 s[24:27], s[0:1], 0x0
	s_load_b64 s[36:37], s[0:1], 0x10
	v_dual_mov_b32 v3, 0 :: v_dual_lshlrev_b32 v14, 2, v0
	s_mov_b32 s34, s15
	s_waitcnt lgkmcnt(0)
	s_add_i32 s33, s25, -1
	s_delay_alu instid0(SALU_CYCLE_1) | instskip(NEXT) | instid1(SALU_CYCLE_1)
	s_ashr_i32 s2, s33, 31
	s_lshr_b32 s2, s2, 24
	s_delay_alu instid0(SALU_CYCLE_1) | instskip(NEXT) | instid1(SALU_CYCLE_1)
	s_add_i32 s2, s33, s2
	s_and_b32 s3, s2, 0xffffff00
	s_ashr_i32 s2, s2, 8
	s_sub_i32 s3, s33, s3
	s_delay_alu instid0(SALU_CYCLE_1)
	v_cmp_gt_i32_e32 vcc_lo, s3, v0
	v_add_co_ci_u32_e64 v15, null, s2, 0, vcc_lo
	v_cmp_eq_u32_e64 s2, 0, v0
	v_cmp_ne_u32_e32 vcc_lo, 0, v0
	ds_store_b32 v14, v15
	s_waitcnt lgkmcnt(0)
	s_barrier
	buffer_gl0_inv
	s_and_saveexec_b32 s4, vcc_lo
	s_cbranch_execz .LBB4_10
; %bb.1:
	v_mov_b32_e32 v3, 0
	v_mov_b32_e32 v1, 0
	s_mov_b32 s6, 0
	s_mov_b32 s5, exec_lo
	v_cmpx_lt_u32_e32 7, v0
	s_cbranch_execz .LBB4_5
; %bb.2:
	v_and_b32_e32 v1, 0xf8, v0
	v_mov_b32_e32 v3, 0
	s_mov_b32 s7, 0
	s_mov_b32 s8, 0
	.p2align	6
.LBB4_3:                                ; =>This Inner Loop Header: Depth=1
	v_mov_b32_e32 v2, s6
	s_add_i32 s8, s8, 8
	s_add_i32 s6, s6, 32
	v_cmp_eq_u32_e64 s3, s8, v1
	ds_load_b128 v[4:7], v2
	ds_load_b128 v[8:11], v2 offset:16
	s_or_b32 s7, s3, s7
	s_waitcnt lgkmcnt(1)
	v_add_nc_u32_e32 v2, v4, v3
	s_delay_alu instid0(VALU_DEP_1) | instskip(NEXT) | instid1(VALU_DEP_1)
	v_add_nc_u32_e32 v2, v5, v2
	v_add_nc_u32_e32 v2, v6, v2
	s_delay_alu instid0(VALU_DEP_1) | instskip(SKIP_1) | instid1(VALU_DEP_1)
	v_add_nc_u32_e32 v2, v7, v2
	s_waitcnt lgkmcnt(0)
	v_add_nc_u32_e32 v2, v8, v2
	s_delay_alu instid0(VALU_DEP_1) | instskip(NEXT) | instid1(VALU_DEP_1)
	v_add_nc_u32_e32 v2, v9, v2
	v_add_nc_u32_e32 v2, v10, v2
	s_delay_alu instid0(VALU_DEP_1)
	v_add_nc_u32_e32 v3, v11, v2
	s_and_not1_b32 exec_lo, exec_lo, s7
	s_cbranch_execnz .LBB4_3
; %bb.4:
	s_or_b32 exec_lo, exec_lo, s7
.LBB4_5:
	s_delay_alu instid0(SALU_CYCLE_1) | instskip(SKIP_3) | instid1(VALU_DEP_1)
	s_or_b32 exec_lo, exec_lo, s5
	v_and_b32_e32 v2, 7, v0
	s_mov_b32 s6, 0
	s_mov_b32 s5, exec_lo
	v_cmpx_ne_u32_e32 0, v2
	s_cbranch_execz .LBB4_9
; %bb.6:
	v_lshlrev_b32_e32 v1, 2, v1
.LBB4_7:                                ; =>This Inner Loop Header: Depth=1
	ds_load_b32 v4, v1
	v_add_nc_u32_e32 v2, -1, v2
	v_add_nc_u32_e32 v1, 4, v1
	s_delay_alu instid0(VALU_DEP_2) | instskip(NEXT) | instid1(VALU_DEP_1)
	v_cmp_eq_u32_e64 s3, 0, v2
	s_or_b32 s6, s3, s6
	s_waitcnt lgkmcnt(0)
	v_add_nc_u32_e32 v3, v4, v3
	s_and_not1_b32 exec_lo, exec_lo, s6
	s_cbranch_execnz .LBB4_7
; %bb.8:
	s_or_b32 exec_lo, exec_lo, s6
.LBB4_9:
	s_delay_alu instid0(SALU_CYCLE_1)
	s_or_b32 exec_lo, exec_lo, s5
.LBB4_10:
	s_delay_alu instid0(SALU_CYCLE_1)
	s_or_b32 exec_lo, exec_lo, s4
	s_clause 0x2
	s_load_b128 s[28:31], s[0:1], 0x18
	s_load_b512 s[8:23], s[0:1], 0x38
	s_load_b64 s[38:39], s[0:1], 0x90
	v_ashrrev_i32_e32 v4, 31, v3
	s_mul_i32 s4, s34, s25
	s_mul_i32 s40, s33, s34
	s_ashr_i32 s5, s4, 31
	s_ashr_i32 s35, s34, 31
	v_lshlrev_b64 v[12:13], 2, v[3:4]
	s_lshl_b64 s[4:5], s[4:5], 2
	s_ashr_i32 s41, s40, 31
	v_mov_b32_e32 v4, 0
	s_waitcnt lgkmcnt(0)
	s_ashr_i32 s43, s30, 31
	s_mul_i32 s3, s34, s13
	s_mul_hi_u32 s6, s34, s12
	s_add_u32 s4, s18, s4
	s_addc_u32 s5, s19, s5
	s_add_i32 s6, s6, s3
	v_add_co_u32 v1, s3, s4, v12
	s_delay_alu instid0(VALU_DEP_1)
	v_add_co_ci_u32_e64 v2, s3, s5, v13, s3
	s_mul_i32 s7, s35, s12
	s_mov_b32 s42, s30
	s_mul_hi_i32 s45, s31, s34
	s_mul_i32 s44, s31, s34
	s_add_i32 s19, s6, s7
	s_mul_i32 s18, s34, s12
	s_mov_b32 s6, 0
	s_mov_b32 s5, exec_lo
	v_cmpx_lt_i32_e32 0, v15
	s_cbranch_execz .LBB4_16
; %bb.11:
	s_load_b128 s[48:51], s[0:1], 0x28
	v_mov_b32_e32 v4, 0
	s_waitcnt lgkmcnt(0)
	s_ashr_i32 s13, s50, 31
	s_mul_hi_i32 s31, s34, s51
	s_mul_i32 s30, s34, s51
	s_mov_b32 s12, s50
	s_lshl_b64 s[30:31], s[30:31], 2
	s_lshl_b64 s[12:13], s[12:13], 2
	s_delay_alu instid0(SALU_CYCLE_1)
	s_add_u32 s3, s30, s12
	s_addc_u32 s4, s31, s13
	s_add_u32 s3, s48, s3
	s_addc_u32 s4, s49, s4
	v_add_co_u32 v6, s3, s3, v12
	s_lshl_b64 s[12:13], s[44:45], 2
	s_lshl_b64 s[30:31], s[42:43], 2
	v_add_co_ci_u32_e64 v7, s3, s4, v13, s3
	s_add_u32 s3, s12, s30
	s_addc_u32 s4, s13, s31
	s_add_u32 s3, s28, s3
	s_addc_u32 s4, s29, s4
	v_add_co_u32 v8, s3, s3, v12
	s_lshl_b64 s[12:13], s[40:41], 2
	v_add_co_ci_u32_e64 v9, s3, s4, v13, s3
	s_add_u32 s3, s22, s12
	s_addc_u32 s4, s23, s13
	v_add_co_u32 v10, s3, s3, v12
	s_lshl_b64 s[12:13], s[18:19], 2
	v_add_co_ci_u32_e64 v11, s3, s4, v13, s3
	s_add_u32 s3, s10, s12
	s_addc_u32 s4, s11, s13
	v_add_co_u32 v12, s3, s3, v12
	s_delay_alu instid0(VALU_DEP_1)
	v_add_co_ci_u32_e64 v13, s3, s4, v13, s3
	s_branch .LBB4_13
.LBB4_12:                               ;   in Loop: Header=BB4_13 Depth=1
	s_or_b32 exec_lo, exec_lo, s4
	v_add_co_u32 v6, s3, v6, 4
	s_delay_alu instid0(VALU_DEP_1)
	v_add_co_ci_u32_e64 v7, s3, 0, v7, s3
	v_add_co_u32 v8, s3, v8, 4
	v_add_nc_u32_e32 v15, -1, v15
	v_add_co_ci_u32_e64 v9, s3, 0, v9, s3
	global_store_b32 v[10:11], v5, off
	global_store_b32 v[12:13], v16, off
	v_add_co_u32 v10, s3, v10, 4
	s_delay_alu instid0(VALU_DEP_1) | instskip(SKIP_4) | instid1(VALU_DEP_4)
	v_add_co_ci_u32_e64 v11, s3, 0, v11, s3
	v_cmp_eq_u32_e64 s3, 0, v15
	v_add_co_u32 v12, s4, v12, 4
	v_add_nc_u32_e32 v3, 1, v3
	v_add_co_ci_u32_e64 v13, s4, 0, v13, s4
	s_or_b32 s6, s3, s6
	s_delay_alu instid0(SALU_CYCLE_1)
	s_and_not1_b32 exec_lo, exec_lo, s6
	s_cbranch_execz .LBB4_15
.LBB4_13:                               ; =>This Inner Loop Header: Depth=1
	global_load_b64 v[17:18], v[8:9], off
	global_load_b32 v16, v[6:7], off
	s_mov_b32 s4, exec_lo
	s_waitcnt vmcnt(1)
	v_mul_f32_e32 v5, v17, v18
	s_delay_alu instid0(VALU_DEP_1) | instskip(SKIP_2) | instid1(VALU_DEP_2)
	v_mul_f32_e64 v17, |v5|, s38
	s_waitcnt vmcnt(0)
	v_mul_f32_e32 v5, v16, v16
	v_fma_f32 v17, v17, s38, s39
	s_delay_alu instid0(VALU_DEP_1)
	v_cmpx_gt_f32_e32 v17, v5
	s_cbranch_execz .LBB4_12
; %bb.14:                               ;   in Loop: Header=BB4_13 Depth=1
	v_ashrrev_i32_e32 v5, 31, v4
	s_delay_alu instid0(VALU_DEP_1) | instskip(SKIP_1) | instid1(VALU_DEP_2)
	v_lshlrev_b64 v[16:17], 2, v[4:5]
	v_dual_mov_b32 v5, 0 :: v_dual_add_nc_u32 v4, 1, v4
	v_add_co_u32 v18, s3, v1, v16
	s_delay_alu instid0(VALU_DEP_1)
	v_add_co_ci_u32_e64 v19, s3, v2, v17, s3
	v_mov_b32_e32 v16, 0
	global_store_b32 v[18:19], v3, off
	s_branch .LBB4_12
.LBB4_15:
	s_or_b32 exec_lo, exec_lo, s6
.LBB4_16:
	s_delay_alu instid0(SALU_CYCLE_1)
	s_or_b32 exec_lo, exec_lo, s5
	v_mov_b32_e32 v5, 0
	ds_store_b32 v14, v4
	s_waitcnt lgkmcnt(0)
	s_waitcnt_vscnt null, 0x0
	s_barrier
	buffer_gl0_inv
	s_and_saveexec_b32 s3, vcc_lo
	s_cbranch_execz .LBB4_26
; %bb.17:
	v_mov_b32_e32 v5, 0
	v_mov_b32_e32 v3, 0
	s_mov_b32 s5, 0
	s_mov_b32 s4, exec_lo
	v_cmpx_lt_u32_e32 7, v0
	s_cbranch_execz .LBB4_21
; %bb.18:
	v_and_b32_e32 v3, 0xf8, v0
	v_mov_b32_e32 v5, 0
	s_mov_b32 s6, 0
	s_mov_b32 s7, 0
	.p2align	6
.LBB4_19:                               ; =>This Inner Loop Header: Depth=1
	v_mov_b32_e32 v10, s5
	s_add_i32 s7, s7, 8
	s_add_i32 s5, s5, 32
	v_cmp_eq_u32_e32 vcc_lo, s7, v3
	ds_load_b128 v[6:9], v10
	ds_load_b128 v[10:13], v10 offset:16
	s_or_b32 s6, vcc_lo, s6
	s_waitcnt lgkmcnt(1)
	v_add_nc_u32_e32 v5, v6, v5
	s_delay_alu instid0(VALU_DEP_1) | instskip(NEXT) | instid1(VALU_DEP_1)
	v_add_nc_u32_e32 v5, v7, v5
	v_add_nc_u32_e32 v5, v8, v5
	s_delay_alu instid0(VALU_DEP_1) | instskip(SKIP_1) | instid1(VALU_DEP_1)
	v_add_nc_u32_e32 v5, v9, v5
	s_waitcnt lgkmcnt(0)
	v_add_nc_u32_e32 v5, v10, v5
	s_delay_alu instid0(VALU_DEP_1) | instskip(NEXT) | instid1(VALU_DEP_1)
	v_add_nc_u32_e32 v5, v11, v5
	v_add_nc_u32_e32 v5, v12, v5
	s_delay_alu instid0(VALU_DEP_1)
	v_add_nc_u32_e32 v5, v13, v5
	s_and_not1_b32 exec_lo, exec_lo, s6
	s_cbranch_execnz .LBB4_19
; %bb.20:
	s_or_b32 exec_lo, exec_lo, s6
.LBB4_21:
	s_delay_alu instid0(SALU_CYCLE_1) | instskip(SKIP_3) | instid1(VALU_DEP_1)
	s_or_b32 exec_lo, exec_lo, s4
	v_and_b32_e32 v6, 7, v0
	s_mov_b32 s5, 0
	s_mov_b32 s4, exec_lo
	v_cmpx_ne_u32_e32 0, v6
	s_cbranch_execz .LBB4_25
; %bb.22:
	v_lshlrev_b32_e32 v3, 2, v3
.LBB4_23:                               ; =>This Inner Loop Header: Depth=1
	ds_load_b32 v7, v3
	v_add_nc_u32_e32 v6, -1, v6
	v_add_nc_u32_e32 v3, 4, v3
	s_delay_alu instid0(VALU_DEP_2)
	v_cmp_eq_u32_e32 vcc_lo, 0, v6
	s_or_b32 s5, vcc_lo, s5
	s_waitcnt lgkmcnt(0)
	v_add_nc_u32_e32 v5, v7, v5
	s_and_not1_b32 exec_lo, exec_lo, s5
	s_cbranch_execnz .LBB4_23
; %bb.24:
	s_or_b32 exec_lo, exec_lo, s5
.LBB4_25:
	s_delay_alu instid0(SALU_CYCLE_1)
	s_or_b32 exec_lo, exec_lo, s4
.LBB4_26:
	s_delay_alu instid0(SALU_CYCLE_1)
	s_or_b32 exec_lo, exec_lo, s3
	s_mul_i32 s3, s34, s17
	s_mul_hi_u32 s4, s34, s16
	s_mov_b32 s7, 0
	s_add_i32 s3, s4, s3
	s_mul_i32 s4, s35, s16
	s_mov_b32 s6, exec_lo
	s_add_i32 s5, s3, s4
	s_mul_i32 s4, s34, s16
	v_cmpx_lt_i32_e32 0, v4
	s_cbranch_execz .LBB4_29
; %bb.27:
	v_ashrrev_i32_e32 v6, 31, v5
	s_lshl_b64 s[12:13], s[4:5], 2
	v_mov_b32_e32 v3, v4
	s_add_u32 s3, s14, s12
	s_addc_u32 s12, s15, s13
	v_lshlrev_b64 v[6:7], 2, v[5:6]
	s_delay_alu instid0(VALU_DEP_1) | instskip(NEXT) | instid1(VALU_DEP_2)
	v_add_co_u32 v6, vcc_lo, s3, v6
	v_add_co_ci_u32_e32 v7, vcc_lo, s12, v7, vcc_lo
	.p2align	6
.LBB4_28:                               ; =>This Inner Loop Header: Depth=1
	global_load_b32 v8, v[1:2], off
	v_add_nc_u32_e32 v3, -1, v3
	v_add_co_u32 v1, vcc_lo, v1, 4
	v_add_co_ci_u32_e32 v2, vcc_lo, 0, v2, vcc_lo
	s_delay_alu instid0(VALU_DEP_3)
	v_cmp_eq_u32_e32 vcc_lo, 0, v3
	s_or_b32 s7, vcc_lo, s7
	s_waitcnt vmcnt(0)
	v_add_nc_u32_e32 v8, 1, v8
	global_store_b32 v[6:7], v8, off
	v_add_co_u32 v6, s3, v6, 4
	s_delay_alu instid0(VALU_DEP_1)
	v_add_co_ci_u32_e64 v7, s3, 0, v7, s3
	s_and_not1_b32 exec_lo, exec_lo, s7
	s_cbranch_execnz .LBB4_28
.LBB4_29:
	s_or_b32 exec_lo, exec_lo, s6
	v_cmp_eq_u32_e64 s3, 0xff, v0
	s_delay_alu instid0(VALU_DEP_1)
	s_and_saveexec_b32 s6, s3
	s_cbranch_execz .LBB4_31
; %bb.30:
	v_dual_mov_b32 v4, 0 :: v_dual_add_nc_u32 v1, v5, v4
	s_lshl_b64 s[12:13], s[34:35], 2
	v_mov_b32_e32 v5, s25
	s_add_u32 s8, s8, s12
	s_delay_alu instid0(VALU_DEP_2) | instskip(SKIP_2) | instid1(SALU_CYCLE_1)
	v_ashrrev_i32_e32 v2, 31, v1
	s_addc_u32 s9, s9, s13
	s_lshl_b64 s[4:5], s[4:5], 2
	s_add_u32 s4, s14, s4
	s_delay_alu instid0(VALU_DEP_1) | instskip(SKIP_2) | instid1(VALU_DEP_2)
	v_lshlrev_b64 v[2:3], 2, v[1:2]
	s_addc_u32 s5, s15, s5
	v_add_nc_u32_e32 v1, 1, v1
	v_add_co_u32 v2, vcc_lo, s4, v2
	s_delay_alu instid0(VALU_DEP_3)
	v_add_co_ci_u32_e32 v3, vcc_lo, s5, v3, vcc_lo
	global_store_b32 v[2:3], v5, off
	global_store_b32 v4, v1, s[8:9]
.LBB4_31:
	s_or_b32 exec_lo, exec_lo, s6
	v_bfrev_b32_e32 v4, -2
	v_mov_b32_e32 v3, 0
	s_mov_b32 s5, exec_lo
	s_waitcnt_vscnt null, 0x0
	s_barrier
	buffer_gl0_inv
	v_cmpx_gt_i32_e64 s33, v0
	s_cbranch_execz .LBB4_35
; %bb.32:
	s_lshl_b64 s[6:7], s[40:41], 2
	v_mov_b32_e32 v3, 0
	s_add_u32 s4, s22, s6
	s_addc_u32 s6, s23, s7
	v_add_co_u32 v1, s4, s4, v14
	s_delay_alu instid0(VALU_DEP_1)
	v_add_co_ci_u32_e64 v2, null, s6, 0, s4
	v_bfrev_b32_e32 v4, -2
	v_mov_b32_e32 v5, v0
	s_mov_b32 s6, 0
	.p2align	6
.LBB4_33:                               ; =>This Inner Loop Header: Depth=1
	global_load_b32 v6, v[1:2], off
	v_cmp_eq_u32_e32 vcc_lo, 0x7fffffff, v4
	v_add_nc_u32_e32 v7, 1, v5
	v_add_co_u32 v1, s4, 0x400, v1
	s_delay_alu instid0(VALU_DEP_1) | instskip(SKIP_2) | instid1(VALU_DEP_1)
	v_add_co_ci_u32_e64 v2, s4, 0, v2, s4
	s_waitcnt vmcnt(0)
	v_cmp_lt_f32_e64 s7, v3, |v6|
	s_or_b32 vcc_lo, s7, vcc_lo
	v_dual_cndmask_b32 v4, v4, v7 :: v_dual_add_nc_u32 v5, 0x100, v5
	v_cndmask_b32_e64 v3, v3, |v6|, vcc_lo
	s_delay_alu instid0(VALU_DEP_2) | instskip(NEXT) | instid1(VALU_DEP_1)
	v_cmp_le_i32_e64 s4, s33, v5
	s_or_b32 s6, s4, s6
	s_delay_alu instid0(SALU_CYCLE_1)
	s_and_not1_b32 exec_lo, exec_lo, s6
	s_cbranch_execnz .LBB4_33
; %bb.34:
	s_or_b32 exec_lo, exec_lo, s6
.LBB4_35:
	s_delay_alu instid0(SALU_CYCLE_1)
	s_or_b32 exec_lo, exec_lo, s5
	s_cmp_lt_i32 s25, 3
	ds_store_b32 v14, v3 offset:1024
	ds_store_b32 v14, v4
	s_waitcnt lgkmcnt(0)
	s_barrier
	buffer_gl0_inv
	s_cbranch_scc1 .LBB4_72
; %bb.36:
	v_or_b32_e32 v1, 0x400, v14
	s_mov_b32 s5, exec_lo
	v_cmpx_gt_u32_e32 0x80, v0
	s_cbranch_execz .LBB4_42
; %bb.37:
	ds_load_b32 v2, v1 offset:512
	ds_load_b32 v5, v14 offset:512
	s_mov_b32 s7, exec_lo
	s_waitcnt lgkmcnt(1)
	v_cmp_lt_f32_e64 s6, v3, v2
	v_cmpx_nlt_f32_e32 v3, v2
	s_cbranch_execz .LBB4_39
; %bb.38:
	v_cmp_eq_f32_e32 vcc_lo, v3, v2
	s_waitcnt lgkmcnt(0)
	v_cmp_gt_i32_e64 s4, v4, v5
	s_and_not1_b32 s6, s6, exec_lo
	s_delay_alu instid0(VALU_DEP_1) | instskip(NEXT) | instid1(SALU_CYCLE_1)
	s_and_b32 s4, vcc_lo, s4
	s_and_b32 s4, s4, exec_lo
	s_delay_alu instid0(SALU_CYCLE_1)
	s_or_b32 s6, s6, s4
.LBB4_39:
	s_or_b32 exec_lo, exec_lo, s7
	s_delay_alu instid0(VALU_DEP_2)
	s_and_saveexec_b32 s4, s6
	s_cbranch_execz .LBB4_41
; %bb.40:
	s_waitcnt lgkmcnt(0)
	v_dual_mov_b32 v4, v5 :: v_dual_mov_b32 v3, v2
	ds_store_b32 v1, v2
	ds_store_b32 v14, v5
.LBB4_41:
	s_or_b32 exec_lo, exec_lo, s4
.LBB4_42:
	s_delay_alu instid0(SALU_CYCLE_1) | instskip(NEXT) | instid1(SALU_CYCLE_1)
	s_or_b32 exec_lo, exec_lo, s5
	s_mov_b32 s5, exec_lo
	s_waitcnt lgkmcnt(0)
	s_barrier
	buffer_gl0_inv
	v_cmpx_gt_u32_e32 64, v0
	s_cbranch_execz .LBB4_48
; %bb.43:
	ds_load_b32 v2, v1 offset:256
	ds_load_b32 v5, v14 offset:256
	s_mov_b32 s7, exec_lo
	s_waitcnt lgkmcnt(1)
	v_cmp_lt_f32_e64 s6, v3, v2
	v_cmpx_nlt_f32_e32 v3, v2
	s_cbranch_execz .LBB4_45
; %bb.44:
	v_cmp_eq_f32_e32 vcc_lo, v3, v2
	s_waitcnt lgkmcnt(0)
	v_cmp_gt_i32_e64 s4, v4, v5
	s_and_not1_b32 s6, s6, exec_lo
	s_delay_alu instid0(VALU_DEP_1) | instskip(NEXT) | instid1(SALU_CYCLE_1)
	s_and_b32 s4, vcc_lo, s4
	s_and_b32 s4, s4, exec_lo
	s_delay_alu instid0(SALU_CYCLE_1)
	s_or_b32 s6, s6, s4
.LBB4_45:
	s_or_b32 exec_lo, exec_lo, s7
	s_delay_alu instid0(VALU_DEP_2)
	s_and_saveexec_b32 s4, s6
	s_cbranch_execz .LBB4_47
; %bb.46:
	s_waitcnt lgkmcnt(0)
	v_dual_mov_b32 v4, v5 :: v_dual_mov_b32 v3, v2
	ds_store_b32 v1, v2
	ds_store_b32 v14, v5
.LBB4_47:
	s_or_b32 exec_lo, exec_lo, s4
.LBB4_48:
	s_delay_alu instid0(SALU_CYCLE_1) | instskip(NEXT) | instid1(SALU_CYCLE_1)
	s_or_b32 exec_lo, exec_lo, s5
	s_mov_b32 s6, exec_lo
	s_waitcnt lgkmcnt(0)
	s_barrier
	buffer_gl0_inv
	v_cmpx_gt_u32_e32 32, v0
	s_cbranch_execz .LBB4_71
; %bb.49:
	ds_load_b32 v2, v1 offset:128
	ds_load_b32 v5, v14 offset:128
	s_mov_b32 s7, exec_lo
	s_waitcnt lgkmcnt(1)
	v_cmp_lt_f32_e64 s5, v3, v2
	v_cmpx_nlt_f32_e32 v3, v2
	s_cbranch_execz .LBB4_51
; %bb.50:
	v_cmp_eq_f32_e32 vcc_lo, v3, v2
	s_waitcnt lgkmcnt(0)
	v_cmp_gt_i32_e64 s4, v4, v5
	s_and_not1_b32 s5, s5, exec_lo
	s_delay_alu instid0(VALU_DEP_1) | instskip(NEXT) | instid1(SALU_CYCLE_1)
	s_and_b32 s4, vcc_lo, s4
	s_and_b32 s4, s4, exec_lo
	s_delay_alu instid0(SALU_CYCLE_1)
	s_or_b32 s5, s5, s4
.LBB4_51:
	s_or_b32 exec_lo, exec_lo, s7
	s_delay_alu instid0(VALU_DEP_2)
	s_and_saveexec_b32 s4, s5
	s_cbranch_execz .LBB4_53
; %bb.52:
	s_waitcnt lgkmcnt(0)
	v_dual_mov_b32 v3, v2 :: v_dual_mov_b32 v4, v5
	ds_store_b32 v1, v2
	ds_store_b32 v14, v5
.LBB4_53:
	s_or_b32 exec_lo, exec_lo, s4
	ds_load_b32 v2, v1 offset:64
	s_waitcnt lgkmcnt(1)
	ds_load_b32 v5, v14 offset:64
	s_mov_b32 s7, exec_lo
	s_waitcnt lgkmcnt(1)
	v_cmp_lt_f32_e64 s5, v3, v2
	v_cmpx_nlt_f32_e32 v3, v2
	s_cbranch_execz .LBB4_55
; %bb.54:
	v_cmp_eq_f32_e32 vcc_lo, v3, v2
	s_waitcnt lgkmcnt(0)
	v_cmp_gt_i32_e64 s4, v4, v5
	s_and_not1_b32 s5, s5, exec_lo
	s_delay_alu instid0(VALU_DEP_1) | instskip(NEXT) | instid1(SALU_CYCLE_1)
	s_and_b32 s4, vcc_lo, s4
	s_and_b32 s4, s4, exec_lo
	s_delay_alu instid0(SALU_CYCLE_1)
	s_or_b32 s5, s5, s4
.LBB4_55:
	s_or_b32 exec_lo, exec_lo, s7
	s_delay_alu instid0(VALU_DEP_2)
	s_and_saveexec_b32 s4, s5
	s_cbranch_execz .LBB4_57
; %bb.56:
	s_waitcnt lgkmcnt(0)
	v_dual_mov_b32 v3, v2 :: v_dual_mov_b32 v4, v5
	ds_store_b32 v1, v2
	ds_store_b32 v14, v5
.LBB4_57:
	s_or_b32 exec_lo, exec_lo, s4
	ds_load_b32 v2, v1 offset:32
	s_waitcnt lgkmcnt(1)
	;; [unrolled: 30-line block ×5, first 2 shown]
	ds_load_b32 v5, v14 offset:4
	s_waitcnt lgkmcnt(1)
	v_cmp_eq_f32_e32 vcc_lo, v3, v2
	s_waitcnt lgkmcnt(0)
	v_cmp_gt_i32_e64 s4, v4, v5
	v_cmp_lt_f32_e64 s5, v3, v2
	s_delay_alu instid0(VALU_DEP_2)
	s_and_b32 s4, vcc_lo, s4
	s_delay_alu instid0(VALU_DEP_1) | instid1(SALU_CYCLE_1)
	s_or_b32 s4, s5, s4
	s_delay_alu instid0(SALU_CYCLE_1)
	s_and_b32 exec_lo, exec_lo, s4
	s_cbranch_execz .LBB4_71
; %bb.70:
	ds_store_b32 v1, v2
	ds_store_b32 v14, v5
.LBB4_71:
	s_or_b32 exec_lo, exec_lo, s6
.LBB4_72:
	v_dual_mov_b32 v1, 0 :: v_dual_mov_b32 v2, s27
	s_waitcnt lgkmcnt(0)
	s_barrier
	buffer_gl0_inv
	ds_load_b32 v1, v1 offset:1024
	s_clause 0x1
	s_load_b128 s[4:7], s[0:1], 0x78
	s_load_b64 s[12:13], s[0:1], 0x88
	s_cmpk_lg_i32 s24, 0xe9
	s_waitcnt lgkmcnt(0)
	v_mul_f32_e32 v1, s39, v1
	s_delay_alu instid0(VALU_DEP_1)
	v_cmp_gt_f32_e32 vcc_lo, s39, v1
	v_cndmask_b32_e64 v7, v1, s39, vcc_lo
	v_mov_b32_e32 v1, s26
	s_cbranch_scc0 .LBB4_75
; %bb.73:
	s_and_saveexec_b32 s0, s2
	s_cbranch_execnz .LBB4_126
.LBB4_74:
	s_nop 0
	s_sendmsg sendmsg(MSG_DEALLOC_VGPRS)
	s_endpgm
.LBB4_75:
	s_lshl_b64 s[30:31], s[44:45], 2
	v_dual_mov_b32 v2, s27 :: v_dual_mov_b32 v1, s26
	s_add_u32 s0, s28, s30
	s_addc_u32 s1, s29, s31
	s_lshl_b64 s[42:43], s[42:43], 2
	s_delay_alu instid0(SALU_CYCLE_1) | instskip(SKIP_2) | instid1(SALU_CYCLE_1)
	s_add_u32 s44, s0, s42
	s_addc_u32 s45, s1, s43
	s_lshl_b64 s[0:1], s[40:41], 2
	s_add_u32 s22, s22, s0
	s_addc_u32 s23, s23, s1
	s_lshl_b64 s[0:1], s[18:19], 2
	s_delay_alu instid0(SALU_CYCLE_1) | instskip(SKIP_2) | instid1(SALU_CYCLE_1)
	s_add_u32 s18, s10, s0
	s_addc_u32 s19, s11, s1
	s_lshl_b32 s10, s25, 1
	s_mul_i32 s0, s10, s34
	s_delay_alu instid0(SALU_CYCLE_1) | instskip(NEXT) | instid1(SALU_CYCLE_1)
	s_ashr_i32 s1, s0, 31
	s_lshl_b64 s[14:15], s[0:1], 2
	s_delay_alu instid0(SALU_CYCLE_1)
	s_add_u32 s8, s6, s14
	s_addc_u32 s9, s7, s15
	s_add_u32 s16, s12, s14
	s_addc_u32 s17, s13, s15
	s_and_saveexec_b32 s1, s2
	s_cbranch_execz .LBB4_83
; %bb.76:
	v_mov_b32_e32 v5, 0
	s_cmp_gt_i32 s25, 1
	s_clause 0x1
	global_load_b32 v4, v5, s[44:45]
	global_load_b32 v2, v5, s[18:19]
	s_cselect_b32 s11, -1, 0
	s_cmp_lt_i32 s25, 2
	s_waitcnt vmcnt(0)
	v_sub_f32_e64 v1, v4, |v2|
	s_delay_alu instid0(VALU_DEP_1) | instskip(NEXT) | instid1(VALU_DEP_1)
	v_sub_f32_e32 v6, v4, v1
	v_cmp_le_f32_e32 vcc_lo, v6, v7
	v_cndmask_b32_e64 v3, 0, 1, vcc_lo
	s_cbranch_scc1 .LBB4_79
; %bb.77:
	v_cmp_gt_f32_e64 s0, v6, -v7
	s_mov_b64 s[26:27], s[22:23]
	s_delay_alu instid0(VALU_DEP_1) | instskip(NEXT) | instid1(SALU_CYCLE_1)
	s_and_b32 s0, vcc_lo, s0
	v_cndmask_b32_e64 v6, v6, -v7, s0
	s_add_u32 s0, s30, s42
	s_addc_u32 s39, s31, s43
	s_add_u32 s0, s0, s28
	s_addc_u32 s39, s39, s29
	;; [unrolled: 2-line block ×3, first 2 shown]
	s_mov_b32 s39, s33
	s_set_inst_prefetch_distance 0x1
	.p2align	6
.LBB4_78:                               ; =>This Inner Loop Header: Depth=1
	s_clause 0x1
	global_load_b32 v8, v5, s[26:27]
	global_load_b32 v9, v5, s[40:41]
	s_add_i32 s39, s39, -1
	s_waitcnt vmcnt(1)
	v_div_scale_f32 v10, null, v6, v6, v8
	v_div_scale_f32 v13, vcc_lo, v8, v6, v8
	s_waitcnt vmcnt(0)
	v_sub_f32_e32 v9, v9, v1
	s_delay_alu instid0(VALU_DEP_3) | instskip(SKIP_2) | instid1(VALU_DEP_1)
	v_rcp_f32_e32 v11, v10
	s_waitcnt_depctr 0xfff
	v_fma_f32 v12, -v10, v11, 1.0
	v_fmac_f32_e32 v11, v12, v11
	s_delay_alu instid0(VALU_DEP_1) | instskip(NEXT) | instid1(VALU_DEP_1)
	v_mul_f32_e32 v12, v13, v11
	v_fma_f32 v14, -v10, v12, v13
	s_delay_alu instid0(VALU_DEP_1) | instskip(NEXT) | instid1(VALU_DEP_1)
	v_fmac_f32_e32 v12, v14, v11
	v_fma_f32 v10, -v10, v12, v13
	s_delay_alu instid0(VALU_DEP_1) | instskip(NEXT) | instid1(VALU_DEP_1)
	v_div_fmas_f32 v10, v10, v11, v12
	v_div_fixup_f32 v6, v10, v6, v8
	s_delay_alu instid0(VALU_DEP_1) | instskip(NEXT) | instid1(VALU_DEP_1)
	v_sub_f32_e32 v6, v9, v6
	v_cmp_le_f32_e32 vcc_lo, v6, v7
	v_cmp_gt_f32_e64 s46, v6, -v7
	v_add_co_ci_u32_e64 v3, s0, 0, v3, vcc_lo
	s_delay_alu instid0(VALU_DEP_2)
	s_and_b32 s0, vcc_lo, s46
	s_add_u32 s26, s26, 4
	v_cndmask_b32_e64 v6, v6, -v7, s0
	s_addc_u32 s27, s27, 0
	s_add_u32 s40, s40, 4
	s_addc_u32 s41, s41, 0
	s_cmp_lg_u32 s39, 0
	s_cbranch_scc1 .LBB4_78
.LBB4_79:
	s_set_inst_prefetch_distance 0x2
	v_and_b32_e32 v2, 0x7fffffff, v2
	s_and_not1_b32 vcc_lo, exec_lo, s11
	s_delay_alu instid0(VALU_DEP_1) | instskip(NEXT) | instid1(VALU_DEP_1)
	v_add_f32_e32 v2, v4, v2
	v_sub_f32_e32 v6, v4, v2
	s_delay_alu instid0(VALU_DEP_1) | instskip(NEXT) | instid1(VALU_DEP_1)
	v_cmp_le_f32_e64 s0, v6, v7
	v_cndmask_b32_e64 v4, 0, 1, s0
	s_cbranch_vccnz .LBB4_82
; %bb.80:
	v_cmp_gt_f32_e64 s11, v6, -v7
	v_mov_b32_e32 v5, 0
	s_mov_b64 s[26:27], s[22:23]
	s_delay_alu instid0(VALU_DEP_2) | instskip(NEXT) | instid1(SALU_CYCLE_1)
	s_and_b32 s0, s0, s11
	v_cndmask_b32_e64 v6, v6, -v7, s0
	s_add_u32 s0, s30, s42
	s_addc_u32 s11, s31, s43
	s_add_u32 s0, s0, s28
	s_addc_u32 s11, s11, s29
	;; [unrolled: 2-line block ×3, first 2 shown]
	s_mov_b32 s11, s33
	s_set_inst_prefetch_distance 0x1
	.p2align	6
.LBB4_81:                               ; =>This Inner Loop Header: Depth=1
	s_clause 0x1
	global_load_b32 v8, v5, s[26:27]
	global_load_b32 v9, v5, s[40:41]
	s_add_i32 s11, s11, -1
	s_waitcnt vmcnt(1)
	v_div_scale_f32 v10, null, v6, v6, v8
	v_div_scale_f32 v13, vcc_lo, v8, v6, v8
	s_waitcnt vmcnt(0)
	v_sub_f32_e32 v9, v9, v2
	s_delay_alu instid0(VALU_DEP_3) | instskip(SKIP_2) | instid1(VALU_DEP_1)
	v_rcp_f32_e32 v11, v10
	s_waitcnt_depctr 0xfff
	v_fma_f32 v12, -v10, v11, 1.0
	v_fmac_f32_e32 v11, v12, v11
	s_delay_alu instid0(VALU_DEP_1) | instskip(NEXT) | instid1(VALU_DEP_1)
	v_mul_f32_e32 v12, v13, v11
	v_fma_f32 v14, -v10, v12, v13
	s_delay_alu instid0(VALU_DEP_1) | instskip(NEXT) | instid1(VALU_DEP_1)
	v_fmac_f32_e32 v12, v14, v11
	v_fma_f32 v10, -v10, v12, v13
	s_delay_alu instid0(VALU_DEP_1) | instskip(NEXT) | instid1(VALU_DEP_1)
	v_div_fmas_f32 v10, v10, v11, v12
	v_div_fixup_f32 v6, v10, v6, v8
	s_delay_alu instid0(VALU_DEP_1) | instskip(NEXT) | instid1(VALU_DEP_1)
	v_sub_f32_e32 v6, v9, v6
	v_cmp_le_f32_e32 vcc_lo, v6, v7
	v_cmp_gt_f32_e64 s39, v6, -v7
	v_add_co_ci_u32_e64 v4, s0, 0, v4, vcc_lo
	s_delay_alu instid0(VALU_DEP_2)
	s_and_b32 s0, vcc_lo, s39
	s_add_u32 s26, s26, 4
	v_cndmask_b32_e64 v6, v6, -v7, s0
	s_addc_u32 s27, s27, 0
	s_add_u32 s40, s40, 4
	s_addc_u32 s41, s41, 0
	s_cmp_lg_u32 s11, 0
	s_cbranch_scc1 .LBB4_81
.LBB4_82:
	s_set_inst_prefetch_distance 0x2
	v_mov_b32_e32 v5, 0
	s_clause 0x1
	global_store_b64 v5, v[1:2], s[8:9]
	global_store_b64 v5, v[3:4], s[16:17]
.LBB4_83:
	s_or_b32 exec_lo, exec_lo, s1
	v_add_nc_u32_e32 v3, 1, v0
	s_mov_b32 s1, exec_lo
	s_delay_alu instid0(VALU_DEP_1)
	v_cmpx_gt_i32_e64 s33, v3
	s_cbranch_execz .LBB4_93
; %bb.84:
	s_cmp_gt_i32 s25, 1
	v_mov_b32_e32 v4, 0
	s_cselect_b32 s11, -1, 0
	s_add_u32 s0, s30, s42
	s_addc_u32 s26, s31, s43
	s_add_u32 s0, s0, s28
	s_addc_u32 s27, s26, s29
	;; [unrolled: 2-line block ×3, first 2 shown]
	s_mov_b32 s39, 0
	s_branch .LBB4_86
.LBB4_85:                               ;   in Loop: Header=BB4_86 Depth=1
	s_set_inst_prefetch_distance 0x2
	v_dual_mov_b32 v9, v4 :: v_dual_lshlrev_b32 v8, 1, v3
	v_add_nc_u32_e32 v3, 0x100, v3
	s_delay_alu instid0(VALU_DEP_2) | instskip(NEXT) | instid1(VALU_DEP_2)
	v_lshlrev_b64 v[8:9], 2, v[8:9]
	v_cmp_le_i32_e32 vcc_lo, s33, v3
	s_or_b32 s39, vcc_lo, s39
	s_delay_alu instid0(VALU_DEP_2) | instskip(NEXT) | instid1(VALU_DEP_1)
	v_add_co_u32 v10, s0, s8, v8
	v_add_co_ci_u32_e64 v11, s0, s9, v9, s0
	v_add_co_u32 v8, s0, s16, v8
	s_delay_alu instid0(VALU_DEP_1)
	v_add_co_ci_u32_e64 v9, s0, s17, v9, s0
	global_store_b64 v[10:11], v[1:2], off
	global_store_b64 v[8:9], v[5:6], off
	s_and_not1_b32 exec_lo, exec_lo, s39
	s_cbranch_execz .LBB4_92
.LBB4_86:                               ; =>This Loop Header: Depth=1
                                        ;     Child Loop BB4_88 Depth 2
                                        ;     Child Loop BB4_91 Depth 2
	v_lshlrev_b64 v[0:1], 2, v[3:4]
	s_delay_alu instid0(VALU_DEP_1) | instskip(NEXT) | instid1(VALU_DEP_2)
	v_add_co_u32 v5, vcc_lo, s18, v0
	v_add_co_ci_u32_e32 v6, vcc_lo, s19, v1, vcc_lo
	v_add_co_u32 v0, vcc_lo, s44, v0
	v_add_co_ci_u32_e32 v1, vcc_lo, s45, v1, vcc_lo
	s_and_not1_b32 vcc_lo, exec_lo, s11
	global_load_b64 v[8:9], v[5:6], off offset:-4
	s_clause 0x1
	global_load_b32 v0, v[0:1], off
	global_load_b32 v6, v4, s[44:45]
	s_waitcnt vmcnt(2)
	v_add_f32_e64 v2, |v9|, |v8|
	s_waitcnt vmcnt(1)
	s_delay_alu instid0(VALU_DEP_1) | instskip(SKIP_1) | instid1(VALU_DEP_1)
	v_sub_f32_e32 v1, v0, v2
	s_waitcnt vmcnt(0)
	v_sub_f32_e32 v8, v6, v1
	s_delay_alu instid0(VALU_DEP_1) | instskip(NEXT) | instid1(VALU_DEP_1)
	v_cmp_le_f32_e64 s0, v8, v7
	v_cndmask_b32_e64 v5, 0, 1, s0
	s_cbranch_vccnz .LBB4_89
; %bb.87:                               ;   in Loop: Header=BB4_86 Depth=1
	v_cmp_gt_f32_e64 s40, v8, -v7
	s_mov_b64 s[46:47], s[22:23]
	s_mov_b32 s48, s33
	s_delay_alu instid0(VALU_DEP_1)
	s_and_b32 s0, s0, s40
	s_mov_b64 s[40:41], s[26:27]
	v_cndmask_b32_e64 v8, v8, -v7, s0
	s_set_inst_prefetch_distance 0x1
	.p2align	6
.LBB4_88:                               ;   Parent Loop BB4_86 Depth=1
                                        ; =>  This Inner Loop Header: Depth=2
	s_clause 0x1
	global_load_b32 v9, v4, s[46:47]
	global_load_b32 v10, v4, s[40:41]
	s_add_i32 s48, s48, -1
	s_waitcnt vmcnt(1)
	v_div_scale_f32 v11, null, v8, v8, v9
	v_div_scale_f32 v14, vcc_lo, v9, v8, v9
	s_waitcnt vmcnt(0)
	v_sub_f32_e32 v10, v10, v1
	s_delay_alu instid0(VALU_DEP_3) | instskip(SKIP_2) | instid1(VALU_DEP_1)
	v_rcp_f32_e32 v12, v11
	s_waitcnt_depctr 0xfff
	v_fma_f32 v13, -v11, v12, 1.0
	v_fmac_f32_e32 v12, v13, v12
	s_delay_alu instid0(VALU_DEP_1) | instskip(NEXT) | instid1(VALU_DEP_1)
	v_mul_f32_e32 v13, v14, v12
	v_fma_f32 v15, -v11, v13, v14
	s_delay_alu instid0(VALU_DEP_1) | instskip(NEXT) | instid1(VALU_DEP_1)
	v_fmac_f32_e32 v13, v15, v12
	v_fma_f32 v11, -v11, v13, v14
	s_delay_alu instid0(VALU_DEP_1) | instskip(NEXT) | instid1(VALU_DEP_1)
	v_div_fmas_f32 v11, v11, v12, v13
	v_div_fixup_f32 v8, v11, v8, v9
	s_delay_alu instid0(VALU_DEP_1) | instskip(NEXT) | instid1(VALU_DEP_1)
	v_sub_f32_e32 v8, v10, v8
	v_cmp_le_f32_e32 vcc_lo, v8, v7
	v_cmp_gt_f32_e64 s49, v8, -v7
	v_add_co_ci_u32_e64 v5, s0, 0, v5, vcc_lo
	s_delay_alu instid0(VALU_DEP_2)
	s_and_b32 s0, vcc_lo, s49
	s_add_u32 s46, s46, 4
	v_cndmask_b32_e64 v8, v8, -v7, s0
	s_addc_u32 s47, s47, 0
	s_add_u32 s40, s40, 4
	s_addc_u32 s41, s41, 0
	s_cmp_lg_u32 s48, 0
	s_cbranch_scc1 .LBB4_88
.LBB4_89:                               ;   in Loop: Header=BB4_86 Depth=1
	s_set_inst_prefetch_distance 0x2
	v_add_f32_e32 v2, v0, v2
	s_and_not1_b32 vcc_lo, exec_lo, s11
	s_delay_alu instid0(VALU_DEP_1) | instskip(NEXT) | instid1(VALU_DEP_1)
	v_sub_f32_e32 v0, v6, v2
	v_cmp_le_f32_e64 s0, v0, v7
	s_delay_alu instid0(VALU_DEP_1)
	v_cndmask_b32_e64 v6, 0, 1, s0
	s_cbranch_vccnz .LBB4_85
; %bb.90:                               ;   in Loop: Header=BB4_86 Depth=1
	v_cmp_gt_f32_e64 s40, v0, -v7
	s_mov_b64 s[46:47], s[22:23]
	s_mov_b32 s48, s33
	s_delay_alu instid0(VALU_DEP_1)
	s_and_b32 s0, s0, s40
	s_mov_b64 s[40:41], s[26:27]
	v_cndmask_b32_e64 v0, v0, -v7, s0
	s_set_inst_prefetch_distance 0x1
	.p2align	6
.LBB4_91:                               ;   Parent Loop BB4_86 Depth=1
                                        ; =>  This Inner Loop Header: Depth=2
	s_clause 0x1
	global_load_b32 v8, v4, s[46:47]
	global_load_b32 v9, v4, s[40:41]
	s_add_i32 s48, s48, -1
	s_waitcnt vmcnt(1)
	v_div_scale_f32 v10, null, v0, v0, v8
	v_div_scale_f32 v13, vcc_lo, v8, v0, v8
	s_waitcnt vmcnt(0)
	v_sub_f32_e32 v9, v9, v2
	s_delay_alu instid0(VALU_DEP_3) | instskip(SKIP_2) | instid1(VALU_DEP_1)
	v_rcp_f32_e32 v11, v10
	s_waitcnt_depctr 0xfff
	v_fma_f32 v12, -v10, v11, 1.0
	v_fmac_f32_e32 v11, v12, v11
	s_delay_alu instid0(VALU_DEP_1) | instskip(NEXT) | instid1(VALU_DEP_1)
	v_mul_f32_e32 v12, v13, v11
	v_fma_f32 v14, -v10, v12, v13
	s_delay_alu instid0(VALU_DEP_1) | instskip(NEXT) | instid1(VALU_DEP_1)
	v_fmac_f32_e32 v12, v14, v11
	v_fma_f32 v10, -v10, v12, v13
	s_delay_alu instid0(VALU_DEP_1) | instskip(NEXT) | instid1(VALU_DEP_1)
	v_div_fmas_f32 v10, v10, v11, v12
	v_div_fixup_f32 v0, v10, v0, v8
	s_delay_alu instid0(VALU_DEP_1) | instskip(NEXT) | instid1(VALU_DEP_1)
	v_sub_f32_e32 v0, v9, v0
	v_cmp_le_f32_e32 vcc_lo, v0, v7
	v_cmp_gt_f32_e64 s49, v0, -v7
	v_add_co_ci_u32_e64 v6, s0, 0, v6, vcc_lo
	s_delay_alu instid0(VALU_DEP_2)
	s_and_b32 s0, vcc_lo, s49
	s_add_u32 s46, s46, 4
	v_cndmask_b32_e64 v0, v0, -v7, s0
	s_addc_u32 s47, s47, 0
	s_add_u32 s40, s40, 4
	s_addc_u32 s41, s41, 0
	s_cmp_lg_u32 s48, 0
	s_cbranch_scc1 .LBB4_91
	s_branch .LBB4_85
.LBB4_92:
	s_or_b32 exec_lo, exec_lo, s39
.LBB4_93:
	s_delay_alu instid0(SALU_CYCLE_1)
	s_or_b32 exec_lo, exec_lo, s1
	s_and_saveexec_b32 s1, s3
	s_cbranch_execz .LBB4_101
; %bb.94:
	s_ashr_i32 s27, s25, 31
	s_mov_b32 s26, s25
	v_mov_b32_e32 v5, 0
	s_lshl_b64 s[26:27], s[26:27], 2
	s_delay_alu instid0(SALU_CYCLE_1)
	s_add_u32 s40, s44, s26
	s_addc_u32 s41, s45, s27
	s_add_u32 s18, s18, s26
	s_addc_u32 s19, s19, s27
	s_clause 0x2
	global_load_b32 v4, v5, s[18:19] offset:-8
	global_load_b32 v2, v5, s[40:41] offset:-4
	global_load_b32 v0, v5, s[44:45]
	s_cmp_gt_i32 s25, 1
	s_cselect_b32 s3, -1, 0
	s_cmp_lt_i32 s25, 2
	s_waitcnt vmcnt(1)
	v_sub_f32_e64 v1, v2, |v4|
	s_waitcnt vmcnt(0)
	s_delay_alu instid0(VALU_DEP_1) | instskip(NEXT) | instid1(VALU_DEP_1)
	v_sub_f32_e32 v6, v0, v1
	v_cmp_le_f32_e32 vcc_lo, v6, v7
	v_cndmask_b32_e64 v3, 0, 1, vcc_lo
	s_cbranch_scc1 .LBB4_97
; %bb.95:
	v_cmp_gt_f32_e64 s0, v6, -v7
	s_mov_b64 s[18:19], s[22:23]
	s_delay_alu instid0(VALU_DEP_1) | instskip(NEXT) | instid1(SALU_CYCLE_1)
	s_and_b32 s0, vcc_lo, s0
	v_cndmask_b32_e64 v6, v6, -v7, s0
	s_add_u32 s0, s30, s42
	s_addc_u32 s11, s31, s43
	s_add_u32 s0, s0, s28
	s_addc_u32 s11, s11, s29
	;; [unrolled: 2-line block ×3, first 2 shown]
	s_mov_b32 s11, s33
	s_set_inst_prefetch_distance 0x1
	.p2align	6
.LBB4_96:                               ; =>This Inner Loop Header: Depth=1
	s_clause 0x1
	global_load_b32 v8, v5, s[18:19]
	global_load_b32 v9, v5, s[26:27]
	s_add_i32 s11, s11, -1
	s_waitcnt vmcnt(1)
	v_div_scale_f32 v10, null, v6, v6, v8
	v_div_scale_f32 v13, vcc_lo, v8, v6, v8
	s_waitcnt vmcnt(0)
	v_sub_f32_e32 v9, v9, v1
	s_delay_alu instid0(VALU_DEP_3) | instskip(SKIP_2) | instid1(VALU_DEP_1)
	v_rcp_f32_e32 v11, v10
	s_waitcnt_depctr 0xfff
	v_fma_f32 v12, -v10, v11, 1.0
	v_fmac_f32_e32 v11, v12, v11
	s_delay_alu instid0(VALU_DEP_1) | instskip(NEXT) | instid1(VALU_DEP_1)
	v_mul_f32_e32 v12, v13, v11
	v_fma_f32 v14, -v10, v12, v13
	s_delay_alu instid0(VALU_DEP_1) | instskip(NEXT) | instid1(VALU_DEP_1)
	v_fmac_f32_e32 v12, v14, v11
	v_fma_f32 v10, -v10, v12, v13
	s_delay_alu instid0(VALU_DEP_1) | instskip(NEXT) | instid1(VALU_DEP_1)
	v_div_fmas_f32 v10, v10, v11, v12
	v_div_fixup_f32 v6, v10, v6, v8
	s_delay_alu instid0(VALU_DEP_1) | instskip(NEXT) | instid1(VALU_DEP_1)
	v_sub_f32_e32 v6, v9, v6
	v_cmp_le_f32_e32 vcc_lo, v6, v7
	v_cmp_gt_f32_e64 s39, v6, -v7
	v_add_co_ci_u32_e64 v3, s0, 0, v3, vcc_lo
	s_delay_alu instid0(VALU_DEP_2)
	s_and_b32 s0, vcc_lo, s39
	s_add_u32 s18, s18, 4
	v_cndmask_b32_e64 v6, v6, -v7, s0
	s_addc_u32 s19, s19, 0
	s_add_u32 s26, s26, 4
	s_addc_u32 s27, s27, 0
	s_cmp_lg_u32 s11, 0
	s_cbranch_scc1 .LBB4_96
.LBB4_97:
	s_set_inst_prefetch_distance 0x2
	v_and_b32_e32 v4, 0x7fffffff, v4
	s_and_not1_b32 vcc_lo, exec_lo, s3
	s_delay_alu instid0(VALU_DEP_1) | instskip(NEXT) | instid1(VALU_DEP_1)
	v_add_f32_e32 v2, v2, v4
	v_sub_f32_e32 v0, v0, v2
	s_delay_alu instid0(VALU_DEP_1) | instskip(NEXT) | instid1(VALU_DEP_1)
	v_cmp_le_f32_e64 s0, v0, v7
	v_cndmask_b32_e64 v4, 0, 1, s0
	s_cbranch_vccnz .LBB4_100
; %bb.98:
	v_cmp_gt_f32_e64 s3, v0, -v7
	s_delay_alu instid0(VALU_DEP_1) | instskip(NEXT) | instid1(SALU_CYCLE_1)
	s_and_b32 s0, s0, s3
	v_cndmask_b32_e64 v5, v0, -v7, s0
	s_add_u32 s0, s30, s42
	s_addc_u32 s3, s31, s43
	s_add_u32 s0, s0, s28
	v_mov_b32_e32 v0, 0
	s_addc_u32 s3, s3, s29
	s_add_u32 s18, s0, 4
	s_addc_u32 s19, s3, 0
	s_set_inst_prefetch_distance 0x1
	.p2align	6
.LBB4_99:                               ; =>This Inner Loop Header: Depth=1
	s_clause 0x1
	global_load_b32 v6, v0, s[22:23]
	global_load_b32 v8, v0, s[18:19]
	s_add_i32 s33, s33, -1
	s_waitcnt vmcnt(1)
	v_div_scale_f32 v9, null, v5, v5, v6
	v_div_scale_f32 v12, vcc_lo, v6, v5, v6
	s_waitcnt vmcnt(0)
	v_sub_f32_e32 v8, v8, v2
	s_delay_alu instid0(VALU_DEP_3) | instskip(SKIP_2) | instid1(VALU_DEP_1)
	v_rcp_f32_e32 v10, v9
	s_waitcnt_depctr 0xfff
	v_fma_f32 v11, -v9, v10, 1.0
	v_fmac_f32_e32 v10, v11, v10
	s_delay_alu instid0(VALU_DEP_1) | instskip(NEXT) | instid1(VALU_DEP_1)
	v_mul_f32_e32 v11, v12, v10
	v_fma_f32 v13, -v9, v11, v12
	s_delay_alu instid0(VALU_DEP_1) | instskip(NEXT) | instid1(VALU_DEP_1)
	v_fmac_f32_e32 v11, v13, v10
	v_fma_f32 v9, -v9, v11, v12
	s_delay_alu instid0(VALU_DEP_1) | instskip(NEXT) | instid1(VALU_DEP_1)
	v_div_fmas_f32 v9, v9, v10, v11
	v_div_fixup_f32 v5, v9, v5, v6
	s_delay_alu instid0(VALU_DEP_1) | instskip(NEXT) | instid1(VALU_DEP_1)
	v_sub_f32_e32 v5, v8, v5
	v_cmp_le_f32_e32 vcc_lo, v5, v7
	v_cmp_gt_f32_e64 s3, v5, -v7
	v_add_co_ci_u32_e64 v4, s0, 0, v4, vcc_lo
	s_delay_alu instid0(VALU_DEP_2)
	s_and_b32 s0, vcc_lo, s3
	s_add_u32 s22, s22, 4
	v_cndmask_b32_e64 v5, v5, -v7, s0
	s_addc_u32 s23, s23, 0
	s_add_u32 s18, s18, 4
	s_addc_u32 s19, s19, 0
	s_cmp_lg_u32 s33, 0
	s_cbranch_scc1 .LBB4_99
.LBB4_100:
	s_set_inst_prefetch_distance 0x2
	s_ashr_i32 s11, s10, 31
	v_mov_b32_e32 v0, 0
	s_lshl_b64 s[18:19], s[10:11], 2
	s_delay_alu instid0(SALU_CYCLE_1)
	s_add_u32 s22, s8, s18
	s_addc_u32 s23, s9, s19
	s_add_u32 s18, s16, s18
	s_addc_u32 s19, s17, s19
	s_clause 0x1
	global_store_b64 v0, v[1:2], s[22:23] offset:-8
	global_store_b64 v0, v[3:4], s[18:19] offset:-8
.LBB4_101:
	s_or_b32 exec_lo, exec_lo, s1
	s_waitcnt_vscnt null, 0x0
	s_barrier
	buffer_gl0_inv
	s_and_saveexec_b32 s3, s2
	s_cbranch_execz .LBB4_125
; %bb.102:
	s_cmp_gt_i32 s25, 0
	s_mov_b32 s0, 1
	s_cselect_b32 s30, -1, 0
	s_cmp_lt_i32 s25, 1
	s_cbranch_scc1 .LBB4_110
; %bb.103:
	s_cmp_lg_u64 s[12:13], 0
	v_mov_b32_e32 v0, 0
	s_cselect_b32 s11, -1, 0
	s_add_u32 s31, s8, -4
	s_addc_u32 s33, s9, -1
	s_add_u32 s39, s16, -4
	s_addc_u32 s40, s17, -1
	s_add_u32 s1, s14, s6
	s_addc_u32 s7, s15, s7
	s_add_u32 s6, s1, 4
	s_addc_u32 s7, s7, 0
	s_branch .LBB4_105
.LBB4_104:                              ;   in Loop: Header=BB4_105 Depth=1
	s_add_i32 s0, s0, 1
	s_add_u32 s6, s6, 4
	s_addc_u32 s7, s7, 0
	s_cmp_lg_u32 s0, s10
	s_cbranch_scc0 .LBB4_110
.LBB4_105:                              ; =>This Loop Header: Depth=1
                                        ;     Child Loop BB4_106 Depth 2
	s_ashr_i32 s1, s0, 31
	s_mov_b64 s[28:29], s[6:7]
	s_lshl_b64 s[18:19], s[0:1], 2
	s_add_i32 s1, s0, -1
	s_add_u32 s22, s31, s18
	s_addc_u32 s23, s33, s19
	s_mov_b32 s27, s0
	global_load_b32 v1, v0, s[22:23]
	s_mov_b32 s26, s1
	s_waitcnt vmcnt(0)
	v_mov_b32_e32 v2, v1
.LBB4_106:                              ;   Parent Loop BB4_105 Depth=1
                                        ; =>  This Inner Loop Header: Depth=2
	global_load_b32 v3, v0, s[28:29]
	s_waitcnt vmcnt(0)
	v_cmp_lt_f32_e32 vcc_lo, v3, v2
	s_and_b32 s41, vcc_lo, exec_lo
	v_cndmask_b32_e32 v2, v2, v3, vcc_lo
	s_cselect_b32 s26, s27, s26
	s_add_i32 s27, s27, 1
	s_add_u32 s28, s28, 4
	s_addc_u32 s29, s29, 0
	s_cmp_ge_i32 s27, s10
	s_cbranch_scc0 .LBB4_106
; %bb.107:                              ;   in Loop: Header=BB4_105 Depth=1
	s_cmp_lg_u32 s26, s1
	s_cbranch_scc0 .LBB4_104
; %bb.108:                              ;   in Loop: Header=BB4_105 Depth=1
	s_ashr_i32 s27, s26, 31
	s_delay_alu instid0(SALU_CYCLE_1) | instskip(NEXT) | instid1(SALU_CYCLE_1)
	s_lshl_b64 s[26:27], s[26:27], 2
	s_add_u32 s28, s8, s26
	s_addc_u32 s29, s9, s27
	s_and_not1_b32 vcc_lo, exec_lo, s11
	s_clause 0x1
	global_store_b32 v0, v1, s[28:29]
	global_store_b32 v0, v2, s[22:23]
	s_cbranch_vccnz .LBB4_104
; %bb.109:                              ;   in Loop: Header=BB4_105 Depth=1
	s_add_u32 s18, s39, s18
	s_addc_u32 s19, s40, s19
	s_add_u32 s22, s16, s26
	s_addc_u32 s23, s17, s27
	s_clause 0x1
	global_load_b32 v1, v0, s[18:19]
	global_load_b32 v2, v0, s[22:23]
	s_waitcnt vmcnt(1)
	global_store_b32 v0, v1, s[22:23]
	s_waitcnt vmcnt(0)
	global_store_b32 v0, v2, s[18:19]
	s_branch .LBB4_104
.LBB4_110:
	s_ashr_i32 s11, s10, 31
	v_mov_b32_e32 v1, 0
	s_lshl_b64 s[0:1], s[10:11], 2
	v_cvt_f32_i32_e32 v4, s25
	s_add_u32 s0, s8, s0
	s_addc_u32 s1, s9, s1
	s_clause 0x1
	global_load_b32 v2, v1, s[8:9]
	global_load_b32 v3, v1, s[0:1] offset:-4
	s_waitcnt vmcnt(0)
	v_cmp_lt_f32_e64 vcc_lo, |v2|, |v3|
	v_cndmask_b32_e32 v0, v2, v3, vcc_lo
	s_and_not1_b32 vcc_lo, exec_lo, s30
	s_delay_alu instid0(VALU_DEP_1) | instskip(SKIP_1) | instid1(VALU_DEP_2)
	v_mul_f32_e64 v5, |v0|, s38
	v_cndmask_b32_e64 v0, 0, 1, s30
	v_fma_f32 v2, -v5, v4, v2
	s_delay_alu instid0(VALU_DEP_1) | instskip(NEXT) | instid1(VALU_DEP_1)
	v_dual_fmac_f32 v3, v5, v4 :: v_dual_sub_f32 v2, v2, v7
	v_add_f32_e32 v3, v7, v3
	s_clause 0x1
	global_store_b32 v1, v2, s[8:9]
	global_store_b32 v1, v3, s[0:1] offset:-4
	s_cbranch_vccnz .LBB4_116
; %bb.111:
	s_max_i32 s7, s10, 2
	s_mov_b32 s11, 0
	s_add_i32 s7, s7, -1
	s_add_u32 s0, s12, s14
	s_addc_u32 s1, s13, s15
	s_add_u32 s0, s0, 4
	s_addc_u32 s1, s1, 0
	s_branch .LBB4_113
	.p2align	6
.LBB4_112:                              ;   in Loop: Header=BB4_113 Depth=1
	s_add_i32 s11, s11, 1
	s_add_u32 s0, s0, 4
	s_addc_u32 s1, s1, 0
	s_cmp_eq_u32 s7, s11
	s_mov_b32 s6, s7
	s_cselect_b32 s16, -1, 0
	s_delay_alu instid0(SALU_CYCLE_1)
	s_and_not1_b32 vcc_lo, exec_lo, s16
	s_cbranch_vccz .LBB4_115
.LBB4_113:                              ; =>This Inner Loop Header: Depth=1
	global_load_b32 v2, v1, s[0:1]
	s_waitcnt vmcnt(0)
	v_cmp_le_i32_e32 vcc_lo, s36, v2
	s_cbranch_vccz .LBB4_112
; %bb.114:
	s_mov_b32 s6, s11
                                        ; implicit-def: $sgpr0_sgpr1
.LBB4_115:
	s_mov_b32 s7, 0
	s_branch .LBB4_117
.LBB4_116:
	s_mov_b64 s[6:7], 0
.LBB4_117:
	s_delay_alu instid0(SALU_CYCLE_1)
	s_lshl_b64 s[0:1], s[6:7], 2
	v_mov_b32_e32 v2, 0
	s_add_u32 s0, s8, s0
	s_addc_u32 s1, s9, s1
	v_cmp_ne_u32_e32 vcc_lo, 1, v0
	s_mov_b32 s7, 1
	global_load_b32 v1, v2, s[0:1]
	s_cbranch_vccnz .LBB4_123
; %bb.118:
	s_max_i32 s10, s10, 2
	s_delay_alu instid0(SALU_CYCLE_1)
	s_add_i32 s11, s10, -1
	s_add_u32 s0, s12, s14
	s_addc_u32 s1, s13, s15
	s_add_u32 s0, s0, 4
	s_addc_u32 s1, s1, 0
	s_branch .LBB4_120
	.p2align	6
.LBB4_119:
	s_mov_b32 s6, s7
                                        ; implicit-def: $sgpr0_sgpr1
	s_branch .LBB4_122
.LBB4_120:                              ; =>This Inner Loop Header: Depth=1
	global_load_b32 v0, v2, s[0:1]
	s_waitcnt vmcnt(0)
	v_cmp_gt_i32_e32 vcc_lo, s37, v0
	s_cbranch_vccz .LBB4_119
; %bb.121:                              ;   in Loop: Header=BB4_120 Depth=1
	s_add_i32 s7, s7, 1
	s_add_u32 s0, s0, 4
	s_addc_u32 s1, s1, 0
	s_cmp_eq_u32 s10, s7
	s_mov_b32 s6, s11
	s_cselect_b32 s12, -1, 0
	s_delay_alu instid0(SALU_CYCLE_1)
	s_and_not1_b32 vcc_lo, exec_lo, s12
	s_cbranch_vccnz .LBB4_120
.LBB4_122:
	s_ashr_i32 s7, s6, 31
	s_branch .LBB4_124
.LBB4_123:
	s_mov_b64 s[6:7], 0
.LBB4_124:
	s_delay_alu instid0(SALU_CYCLE_1)
	s_lshl_b64 s[0:1], s[6:7], 2
	v_mov_b32_e32 v0, 0
	s_add_u32 s0, s8, s0
	s_addc_u32 s1, s9, s1
	global_load_b32 v2, v0, s[0:1]
.LBB4_125:
	s_or_b32 exec_lo, exec_lo, s3
	s_and_saveexec_b32 s0, s2
	s_cbranch_execz .LBB4_74
.LBB4_126:
	s_lshl_b64 s[0:1], s[34:35], 2
	v_mov_b32_e32 v0, 0
	s_add_u32 s0, s20, s0
	s_addc_u32 s1, s21, s1
	s_lshl_b32 s2, s34, 1
	s_delay_alu instid0(SALU_CYCLE_1) | instskip(NEXT) | instid1(SALU_CYCLE_1)
	s_ashr_i32 s3, s2, 31
	s_lshl_b64 s[2:3], s[2:3], 2
	s_delay_alu instid0(SALU_CYCLE_1)
	s_add_u32 s2, s4, s2
	s_addc_u32 s3, s5, s3
	s_cmpk_eq_i32 s24, 0xe7
	s_cselect_b32 s4, -1, 0
	s_waitcnt vmcnt(0)
	v_cndmask_b32_e64 v2, v2, 0, s4
	v_cndmask_b32_e64 v1, v1, 0, s4
	s_clause 0x1
	global_store_b32 v0, v7, s[0:1]
	global_store_b64 v0, v[1:2], s[2:3]
	s_nop 0
	s_sendmsg sendmsg(MSG_DEALLOC_VGPRS)
	s_endpgm
	.section	.rodata,"a",@progbits
	.p2align	6, 0x0
	.amdhsa_kernel _ZN9rocsolver6v33100L22stebz_splitting_kernelIfPfEEv15rocblas_erange_iT_S4_iiT0_iiS5_iiPiPS4_lS6_lS6_S7_S7_S7_S7_S6_S4_S4_
		.amdhsa_group_segment_fixed_size 2048
		.amdhsa_private_segment_fixed_size 0
		.amdhsa_kernarg_size 152
		.amdhsa_user_sgpr_count 14
		.amdhsa_user_sgpr_dispatch_ptr 0
		.amdhsa_user_sgpr_queue_ptr 0
		.amdhsa_user_sgpr_kernarg_segment_ptr 1
		.amdhsa_user_sgpr_dispatch_id 0
		.amdhsa_user_sgpr_private_segment_size 0
		.amdhsa_wavefront_size32 1
		.amdhsa_uses_dynamic_stack 0
		.amdhsa_enable_private_segment 0
		.amdhsa_system_sgpr_workgroup_id_x 1
		.amdhsa_system_sgpr_workgroup_id_y 1
		.amdhsa_system_sgpr_workgroup_id_z 0
		.amdhsa_system_sgpr_workgroup_info 0
		.amdhsa_system_vgpr_workitem_id 0
		.amdhsa_next_free_vgpr 20
		.amdhsa_next_free_sgpr 52
		.amdhsa_reserve_vcc 1
		.amdhsa_float_round_mode_32 0
		.amdhsa_float_round_mode_16_64 0
		.amdhsa_float_denorm_mode_32 3
		.amdhsa_float_denorm_mode_16_64 3
		.amdhsa_dx10_clamp 1
		.amdhsa_ieee_mode 1
		.amdhsa_fp16_overflow 0
		.amdhsa_workgroup_processor_mode 1
		.amdhsa_memory_ordered 1
		.amdhsa_forward_progress 0
		.amdhsa_shared_vgpr_count 0
		.amdhsa_exception_fp_ieee_invalid_op 0
		.amdhsa_exception_fp_denorm_src 0
		.amdhsa_exception_fp_ieee_div_zero 0
		.amdhsa_exception_fp_ieee_overflow 0
		.amdhsa_exception_fp_ieee_underflow 0
		.amdhsa_exception_fp_ieee_inexact 0
		.amdhsa_exception_int_div_zero 0
	.end_amdhsa_kernel
	.section	.text._ZN9rocsolver6v33100L22stebz_splitting_kernelIfPfEEv15rocblas_erange_iT_S4_iiT0_iiS5_iiPiPS4_lS6_lS6_S7_S7_S7_S7_S6_S4_S4_,"axG",@progbits,_ZN9rocsolver6v33100L22stebz_splitting_kernelIfPfEEv15rocblas_erange_iT_S4_iiT0_iiS5_iiPiPS4_lS6_lS6_S7_S7_S7_S7_S6_S4_S4_,comdat
.Lfunc_end4:
	.size	_ZN9rocsolver6v33100L22stebz_splitting_kernelIfPfEEv15rocblas_erange_iT_S4_iiT0_iiS5_iiPiPS4_lS6_lS6_S7_S7_S7_S7_S6_S4_S4_, .Lfunc_end4-_ZN9rocsolver6v33100L22stebz_splitting_kernelIfPfEEv15rocblas_erange_iT_S4_iiT0_iiS5_iiPiPS4_lS6_lS6_S7_S7_S7_S7_S6_S4_S4_
                                        ; -- End function
	.section	.AMDGPU.csdata,"",@progbits
; Kernel info:
; codeLenInByte = 6232
; NumSgprs: 54
; NumVgprs: 20
; ScratchSize: 0
; MemoryBound: 0
; FloatMode: 240
; IeeeMode: 1
; LDSByteSize: 2048 bytes/workgroup (compile time only)
; SGPRBlocks: 6
; VGPRBlocks: 2
; NumSGPRsForWavesPerEU: 54
; NumVGPRsForWavesPerEU: 20
; Occupancy: 16
; WaveLimiterHint : 1
; COMPUTE_PGM_RSRC2:SCRATCH_EN: 0
; COMPUTE_PGM_RSRC2:USER_SGPR: 14
; COMPUTE_PGM_RSRC2:TRAP_HANDLER: 0
; COMPUTE_PGM_RSRC2:TGID_X_EN: 1
; COMPUTE_PGM_RSRC2:TGID_Y_EN: 1
; COMPUTE_PGM_RSRC2:TGID_Z_EN: 0
; COMPUTE_PGM_RSRC2:TIDIG_COMP_CNT: 0
	.section	.text._ZN9rocsolver6v33100L22stebz_bisection_kernelIfPfEEv15rocblas_erange_iT_T0_iiS5_iiPiPS4_lS6_lS6_lS6_S6_S7_S7_S7_S7_S6_S4_S4_,"axG",@progbits,_ZN9rocsolver6v33100L22stebz_bisection_kernelIfPfEEv15rocblas_erange_iT_T0_iiS5_iiPiPS4_lS6_lS6_lS6_S6_S7_S7_S7_S7_S6_S4_S4_,comdat
	.globl	_ZN9rocsolver6v33100L22stebz_bisection_kernelIfPfEEv15rocblas_erange_iT_T0_iiS5_iiPiPS4_lS6_lS6_lS6_S6_S7_S7_S7_S7_S6_S4_S4_ ; -- Begin function _ZN9rocsolver6v33100L22stebz_bisection_kernelIfPfEEv15rocblas_erange_iT_T0_iiS5_iiPiPS4_lS6_lS6_lS6_S6_S7_S7_S7_S7_S6_S4_S4_
	.p2align	8
	.type	_ZN9rocsolver6v33100L22stebz_bisection_kernelIfPfEEv15rocblas_erange_iT_T0_iiS5_iiPiPS4_lS6_lS6_lS6_S6_S7_S7_S7_S7_S6_S4_S4_,@function
_ZN9rocsolver6v33100L22stebz_bisection_kernelIfPfEEv15rocblas_erange_iT_T0_iiS5_iiPiPS4_lS6_lS6_lS6_S6_S7_S7_S7_S7_S6_S4_S4_: ; @_ZN9rocsolver6v33100L22stebz_bisection_kernelIfPfEEv15rocblas_erange_iT_T0_iiS5_iiPiPS4_lS6_lS6_lS6_S6_S7_S7_S7_S7_S6_S4_S4_
; %bb.0:
	s_load_b512 s[16:31], s[0:1], 0x30
	s_mov_b32 s2, s15
	s_ashr_i32 s3, s15, 31
	s_delay_alu instid0(SALU_CYCLE_1)
	s_lshl_b64 s[12:13], s[2:3], 2
	s_waitcnt lgkmcnt(0)
	s_add_u32 s4, s16, s12
	s_addc_u32 s5, s17, s13
	s_load_b32 s33, s[4:5], 0x0
	s_waitcnt lgkmcnt(0)
	s_cmp_ge_i32 s14, s33
	s_cbranch_scc1 .LBB5_98
; %bb.1:
	s_clause 0x2
	s_load_b256 s[4:11], s[0:1], 0x0
	s_load_b128 s[44:47], s[0:1], 0x20
	s_load_b256 s[36:43], s[0:1], 0x70
	s_mul_i32 s15, s2, s21
	s_mul_hi_u32 s17, s2, s20
	s_mul_i32 s55, s3, s20
	s_mul_i32 s16, s2, s20
	;; [unrolled: 1-line block ×3, first 2 shown]
	v_lshl_or_b32 v9, v0, 2, 0x1000
                                        ; implicit-def: $vgpr16
                                        ; implicit-def: $vgpr17
                                        ; implicit-def: $vgpr18
                                        ; implicit-def: $vgpr19
                                        ; implicit-def: $vgpr20
	v_dual_mov_b32 v15, 1 :: v_dual_lshlrev_b32 v10, 4, v0
	s_delay_alu instid0(VALU_DEP_1)
	v_or_b32_e32 v12, 0x800, v10
	s_waitcnt lgkmcnt(0)
	s_mul_hi_i32 s35, s11, s2
	s_mul_i32 s34, s11, s2
	s_ashr_i32 s21, s10, 31
	s_lshl_b64 s[48:49], s[34:35], 2
	s_mov_b32 s20, s10
	s_add_u32 s7, s8, s48
	s_addc_u32 s11, s9, s49
	s_lshl_b64 s[50:51], s[20:21], 2
	s_mul_hi_i32 s35, s47, s2
	s_mul_i32 s34, s47, s2
	s_add_u32 s7, s7, s50
	s_addc_u32 s52, s11, s51
	s_lshl_b64 s[34:35], s[34:35], 2
	s_mov_b32 s10, s46
	s_ashr_i32 s11, s46, 31
	s_add_u32 s20, s44, s34
	s_addc_u32 s21, s45, s35
	s_lshl_b64 s[46:47], s[10:11], 2
	s_delay_alu instid0(SALU_CYCLE_1)
	s_add_u32 s53, s20, s46
	s_addc_u32 s54, s21, s47
	s_add_i32 s10, s17, s15
	s_mul_hi_u32 s15, s2, s24
	s_add_i32 s17, s10, s55
	s_mul_i32 s20, s3, s24
	s_lshl_b64 s[10:11], s[16:17], 2
	s_mul_i32 s16, s2, s24
	s_add_u32 s55, s18, s10
	s_addc_u32 s56, s19, s11
	s_add_i32 s10, s15, s25
	s_mul_i32 s15, s2, s29
	s_add_i32 s17, s10, s20
	s_mul_hi_u32 s18, s2, s28
	s_lshl_b64 s[10:11], s[16:17], 2
	s_mul_i32 s3, s3, s28
	s_add_u32 s57, s22, s10
	s_addc_u32 s58, s23, s11
	s_add_i32 s11, s18, s15
	s_mul_i32 s10, s2, s28
	s_add_i32 s11, s11, s3
	s_delay_alu instid0(SALU_CYCLE_1) | instskip(NEXT) | instid1(SALU_CYCLE_1)
	s_lshl_b64 s[10:11], s[10:11], 2
	s_add_u32 s59, s26, s10
	s_addc_u32 s60, s27, s11
	s_add_i32 s3, s5, -1
	s_delay_alu instid0(SALU_CYCLE_1) | instskip(NEXT) | instid1(SALU_CYCLE_1)
	s_mul_i32 s10, s3, s2
	s_ashr_i32 s11, s10, 31
	s_delay_alu instid0(SALU_CYCLE_1) | instskip(NEXT) | instid1(SALU_CYCLE_1)
	s_lshl_b64 s[10:11], s[10:11], 2
	s_add_u32 s40, s40, s10
	s_addc_u32 s41, s41, s11
	s_lshl_b32 s10, s2, 1
	s_mul_i32 s2, s2, s5
	s_ashr_i32 s11, s10, 31
	s_delay_alu instid0(SALU_CYCLE_1) | instskip(NEXT) | instid1(SALU_CYCLE_1)
	s_lshl_b64 s[10:11], s[10:11], 2
	s_add_u32 s10, s42, s10
	s_addc_u32 s11, s43, s11
	s_add_u32 s16, s38, s12
	s_addc_u32 s17, s39, s13
	s_load_b32 s38, s[16:17], 0x0
	s_clause 0x1
	s_load_b128 s[16:19], s[0:1], 0x90
	s_load_b32 s39, s[0:1], 0xa0
	s_add_u32 s12, s30, s12
	s_addc_u32 s13, s31, s13
	s_lshl_b32 s20, s2, 2
	v_cmp_eq_u32_e64 s0, 0, v0
	s_ashr_i32 s21, s20, 31
	v_cmp_ne_u32_e64 s1, 0, v0
	s_lshl_b64 s[22:23], s[20:21], 2
	s_mov_b32 s20, 0xfefa39ef
	s_mov_b32 s21, 0x3fe62e42
	s_waitcnt lgkmcnt(0)
	v_cmp_gt_f32_e64 s15, 0x800000, s38
	s_add_u32 s42, s16, s22
	s_addc_u32 s43, s17, s23
	s_add_u32 s61, s18, s22
	s_addc_u32 s62, s19, s23
	v_cndmask_b32_e64 v1, 1.0, 0x4f800000, s15
	s_ashr_i32 s3, s2, 31
	v_add_f32_e64 v13, s39, s39
	s_lshl_b64 s[16:17], s[2:3], 2
	v_cmp_lt_f32_e64 s2, s6, 0
	v_mul_f32_e32 v1, s38, v1
	s_add_u32 s36, s36, s16
	s_addc_u32 s37, s37, s17
	s_cmpk_lg_i32 s4, 0xe7
	s_delay_alu instid0(VALU_DEP_1)
	v_log_f32_e32 v1, v1
	v_mov_b32_e32 v11, 0
	s_cselect_b32 s63, -1, 0
	s_add_u32 s64, s59, -4
	s_addc_u32 s65, s60, -1
	s_add_u32 s3, s48, s50
	s_addc_u32 s4, s49, s51
	s_add_u32 s3, s3, s8
	s_addc_u32 s4, s4, s9
	s_add_u32 s48, s3, 4
	s_waitcnt_depctr 0xfff
	v_mul_f32_e32 v2, 0x3f317217, v1
	v_cmp_gt_f32_e64 vcc_lo, 0x7f800000, |v1|
	s_addc_u32 s49, s4, 0
	s_add_u32 s3, s34, s46
	s_addc_u32 s4, s35, s47
	v_fma_f32 v3, 0x3f317217, v1, -v2
	s_add_u32 s3, s3, s44
	s_addc_u32 s4, s4, s45
	s_add_u32 s34, s3, 4
	s_addc_u32 s35, s4, 0
	v_fmac_f32_e32 v3, 0x3377d1cf, v1
	s_delay_alu instid0(VALU_DEP_1) | instskip(SKIP_1) | instid1(VALU_DEP_2)
	v_add_f32_e32 v2, v2, v3
	v_cndmask_b32_e64 v3, 0, 0x41b17218, s15
	v_cndmask_b32_e32 v1, v1, v2, vcc_lo
	s_delay_alu instid0(VALU_DEP_1)
	v_sub_f32_e32 v14, v1, v3
	s_branch .LBB5_4
.LBB5_2:                                ;   in Loop: Header=BB5_4 Depth=1
	s_or_b32 exec_lo, exec_lo, s3
	v_dual_mov_b32 v4, v20 :: v_dual_mov_b32 v23, v19
	v_dual_mov_b32 v21, v18 :: v_dual_mov_b32 v24, v17
	v_mov_b32_e32 v22, v16
.LBB5_3:                                ;   in Loop: Header=BB5_4 Depth=1
	s_delay_alu instid0(VALU_DEP_1) | instskip(NEXT) | instid1(VALU_DEP_3)
	v_dual_mov_b32 v16, v22 :: v_dual_mov_b32 v17, v24
	v_dual_mov_b32 v18, v21 :: v_dual_mov_b32 v19, v23
	v_mov_b32_e32 v20, v4
	s_add_i32 s14, s14, 64
	s_waitcnt vmcnt(0)
	s_waitcnt_vscnt null, 0x0
	s_cmp_lt_i32 s14, s33
	s_barrier
	buffer_gl0_inv
	s_cbranch_scc0 .LBB5_98
.LBB5_4:                                ; =>This Loop Header: Depth=1
                                        ;     Child Loop BB5_9 Depth 2
                                        ;     Child Loop BB5_22 Depth 2
	;; [unrolled: 1-line block ×4, first 2 shown]
                                        ;       Child Loop BB5_42 Depth 3
                                        ;         Child Loop BB5_45 Depth 4
                                        ;         Child Loop BB5_58 Depth 4
                                        ;     Child Loop BB5_77 Depth 2
                                        ;       Child Loop BB5_79 Depth 3
	s_ashr_i32 s15, s14, 31
	s_cmp_eq_u32 s14, 0
	s_mov_b32 s16, 0
	s_cbranch_scc1 .LBB5_6
; %bb.5:                                ;   in Loop: Header=BB5_4 Depth=1
	s_lshl_b64 s[8:9], s[14:15], 2
	s_delay_alu instid0(SALU_CYCLE_1)
	s_add_u32 s8, s64, s8
	s_addc_u32 s9, s65, s9
	global_load_b32 v1, v11, s[8:9]
	s_waitcnt vmcnt(0)
	v_readfirstlane_b32 s16, v1
.LBB5_6:                                ;   in Loop: Header=BB5_4 Depth=1
	s_lshl_b64 s[8:9], s[14:15], 2
	s_delay_alu instid0(SALU_CYCLE_1) | instskip(SKIP_4) | instid1(VALU_DEP_1)
	s_add_u32 s18, s59, s8
	s_addc_u32 s19, s60, s9
	global_load_b32 v1, v11, s[18:19]
	s_waitcnt vmcnt(0)
	v_readfirstlane_b32 s3, v1
	s_sub_i32 s4, s3, s16
	s_delay_alu instid0(SALU_CYCLE_1)
	s_cmp_lg_u32 s4, 1
	s_cbranch_scc0 .LBB5_16
; %bb.7:                                ;   in Loop: Header=BB5_4 Depth=1
	s_ashr_i32 s17, s16, 31
	s_delay_alu instid0(SALU_CYCLE_1) | instskip(NEXT) | instid1(SALU_CYCLE_1)
	s_lshl_b64 s[24:25], s[16:17], 2
	s_add_u32 s18, s7, s24
	s_addc_u32 s19, s52, s25
	s_add_u32 s22, s53, s24
	s_addc_u32 s23, s54, s25
	s_cmp_lt_i32 s4, 3
	s_clause 0x1
	global_load_b32 v1, v11, s[22:23]
	global_load_b32 v6, v11, s[18:19]
	s_waitcnt vmcnt(1)
	v_and_b32_e32 v3, 0x7fffffff, v1
	s_waitcnt vmcnt(0)
	v_sub_f32_e64 v2, v6, |v1|
	v_add_f32_e64 v1, v6, |v1|
	s_cbranch_scc1 .LBB5_10
; %bb.8:                                ;   in Loop: Header=BB5_4 Depth=1
	s_add_i32 s3, s4, -2
	s_add_u32 s22, s48, s24
	s_addc_u32 s23, s49, s25
	s_add_u32 s26, s34, s24
	s_addc_u32 s27, s35, s25
	.p2align	6
.LBB5_9:                                ;   Parent Loop BB5_4 Depth=1
                                        ; =>  This Inner Loop Header: Depth=2
	s_clause 0x1
	global_load_b32 v4, v11, s[22:23]
	global_load_b32 v5, v11, s[26:27]
	s_add_i32 s3, s3, -1
	s_add_u32 s22, s22, 4
	s_addc_u32 s23, s23, 0
	s_add_u32 s26, s26, 4
	s_addc_u32 s27, s27, 0
	s_cmp_lg_u32 s3, 0
	s_waitcnt vmcnt(1)
	v_sub_f32_e32 v7, v4, v3
	v_add_f32_e32 v3, v3, v4
	s_waitcnt vmcnt(0)
	s_delay_alu instid0(VALU_DEP_2) | instskip(NEXT) | instid1(VALU_DEP_2)
	v_sub_f32_e64 v4, v7, |v5|
	v_add_f32_e64 v7, v3, |v5|
	v_and_b32_e32 v3, 0x7fffffff, v5
	s_delay_alu instid0(VALU_DEP_3) | instskip(SKIP_1) | instid1(VALU_DEP_4)
	v_cmp_lt_f32_e32 vcc_lo, v4, v2
	v_cndmask_b32_e32 v2, v2, v4, vcc_lo
	v_cmp_lt_f32_e32 vcc_lo, v1, v7
	v_cndmask_b32_e32 v1, v1, v7, vcc_lo
	s_cbranch_scc1 .LBB5_9
.LBB5_10:                               ;   in Loop: Header=BB5_4 Depth=1
	s_add_i32 s22, s4, -1
	s_delay_alu instid0(SALU_CYCLE_1) | instskip(NEXT) | instid1(SALU_CYCLE_1)
	s_ashr_i32 s23, s22, 31
	s_lshl_b64 s[26:27], s[22:23], 2
	s_delay_alu instid0(SALU_CYCLE_1) | instskip(SKIP_4) | instid1(VALU_DEP_1)
	s_add_u32 s26, s18, s26
	s_addc_u32 s27, s19, s27
	global_load_b32 v4, v11, s[26:27]
	s_waitcnt vmcnt(0)
	v_sub_f32_e32 v5, v4, v3
	v_cmp_lt_f32_e32 vcc_lo, v5, v2
	v_add_f32_e32 v3, v3, v4
	v_cvt_f32_i32_e32 v4, s4
	v_cndmask_b32_e32 v2, v2, v5, vcc_lo
	s_delay_alu instid0(VALU_DEP_3) | instskip(SKIP_1) | instid1(VALU_DEP_1)
	v_cmp_lt_f32_e32 vcc_lo, v1, v3
	v_cndmask_b32_e32 v3, v1, v3, vcc_lo
	v_cmp_lt_f32_e64 vcc_lo, |v2|, |v3|
	v_cndmask_b32_e32 v1, v2, v3, vcc_lo
	s_and_not1_b32 vcc_lo, exec_lo, s63
	s_delay_alu instid0(VALU_DEP_1) | instskip(NEXT) | instid1(VALU_DEP_1)
	v_mul_f32_e64 v5, |v1|, s39
	v_fma_f32 v1, -v5, v4, v2
	v_fmac_f32_e32 v3, v5, v4
	s_delay_alu instid0(VALU_DEP_1)
	v_dual_subrev_f32 v1, s38, v1 :: v_dual_add_f32 v2, s38, v3
	s_cbranch_vccnz .LBB5_12
; %bb.11:                               ;   in Loop: Header=BB5_4 Depth=1
	global_load_b64 v[3:4], v11, s[10:11]
	s_waitcnt vmcnt(0)
	v_cmp_lt_f32_e32 vcc_lo, v1, v3
	v_cndmask_b32_e32 v1, v1, v3, vcc_lo
	v_cmp_lt_f32_e32 vcc_lo, v4, v2
	v_cndmask_b32_e32 v2, v2, v4, vcc_lo
.LBB5_12:                               ;   in Loop: Header=BB5_4 Depth=1
	s_delay_alu instid0(VALU_DEP_1)
	v_cmp_nlt_f32_e32 vcc_lo, v1, v2
	s_cbranch_vccz .LBB5_17
; %bb.13:                               ;   in Loop: Header=BB5_4 Depth=1
	s_and_saveexec_b32 s3, s0
	s_cbranch_execz .LBB5_15
; %bb.14:                               ;   in Loop: Header=BB5_4 Depth=1
	s_add_u32 s26, s36, s8
	s_addc_u32 s27, s37, s9
	ds_store_b16 v11, v11 offset:4612
	global_store_b32 v11, v11, s[26:27]
.LBB5_15:                               ;   in Loop: Header=BB5_4 Depth=1
	s_or_b32 exec_lo, exec_lo, s3
	s_mov_b32 s3, 0
	s_branch .LBB5_18
.LBB5_16:                               ;   in Loop: Header=BB5_4 Depth=1
                                        ; implicit-def: $vgpr22
                                        ; implicit-def: $vgpr24
                                        ; implicit-def: $vgpr21
                                        ; implicit-def: $vgpr23
                                        ; implicit-def: $vgpr4
	s_cbranch_execz .LBB5_3
	s_branch .LBB5_89
.LBB5_17:                               ;   in Loop: Header=BB5_4 Depth=1
	s_mov_b32 s3, -1
.LBB5_18:                               ;   in Loop: Header=BB5_4 Depth=1
	v_dual_mov_b32 v4, v20 :: v_dual_mov_b32 v23, v19
	v_dual_mov_b32 v21, v18 :: v_dual_mov_b32 v22, v16
	s_and_not1_b32 vcc_lo, exec_lo, s3
	s_cbranch_vccnz .LBB5_32
; %bb.19:                               ;   in Loop: Header=BB5_4 Depth=1
	v_sub_f32_e32 v3, v2, v1
	s_delay_alu instid0(VALU_DEP_1) | instskip(NEXT) | instid1(VALU_DEP_1)
	v_add_f32_e32 v3, s38, v3
	v_cmp_gt_f32_e32 vcc_lo, 0x800000, v3
	v_cndmask_b32_e64 v4, 1.0, 0x4f800000, vcc_lo
	s_delay_alu instid0(VALU_DEP_1) | instskip(NEXT) | instid1(VALU_DEP_1)
	v_mul_f32_e32 v3, v3, v4
	v_log_f32_e32 v3, v3
	s_waitcnt_depctr 0xfff
	v_mul_f32_e32 v4, 0x3f317217, v3
	s_delay_alu instid0(VALU_DEP_1) | instskip(NEXT) | instid1(VALU_DEP_1)
	v_fma_f32 v7, 0x3f317217, v3, -v4
	v_fmac_f32_e32 v7, 0x3377d1cf, v3
	s_delay_alu instid0(VALU_DEP_1) | instskip(SKIP_2) | instid1(VALU_DEP_3)
	v_add_f32_e32 v4, v4, v7
	v_cndmask_b32_e64 v7, 0, 0x41b17218, vcc_lo
	v_cmp_gt_f32_e64 vcc_lo, 0x7f800000, |v3|
	v_cndmask_b32_e32 v3, v3, v4, vcc_lo
	s_delay_alu instid0(VALU_DEP_1) | instskip(NEXT) | instid1(VALU_DEP_1)
	v_sub_f32_e32 v3, v3, v7
	v_sub_f32_e32 v3, v3, v14
	s_delay_alu instid0(VALU_DEP_1) | instskip(NEXT) | instid1(VALU_DEP_1)
	v_cvt_f64_f32_e32 v[3:4], v3
	v_div_scale_f64 v[7:8], null, s[20:21], s[20:21], v[3:4]
	v_div_scale_f64 v[25:26], vcc_lo, v[3:4], s[20:21], v[3:4]
	s_delay_alu instid0(VALU_DEP_2) | instskip(SKIP_2) | instid1(VALU_DEP_1)
	v_rcp_f64_e32 v[21:22], v[7:8]
	s_waitcnt_depctr 0xfff
	v_fma_f64 v[23:24], -v[7:8], v[21:22], 1.0
	v_fma_f64 v[21:22], v[21:22], v[23:24], v[21:22]
	s_delay_alu instid0(VALU_DEP_1) | instskip(NEXT) | instid1(VALU_DEP_1)
	v_fma_f64 v[23:24], -v[7:8], v[21:22], 1.0
	v_fma_f64 v[21:22], v[21:22], v[23:24], v[21:22]
	s_delay_alu instid0(VALU_DEP_1) | instskip(NEXT) | instid1(VALU_DEP_1)
	v_mul_f64 v[23:24], v[25:26], v[21:22]
	v_fma_f64 v[7:8], -v[7:8], v[23:24], v[25:26]
	s_delay_alu instid0(VALU_DEP_1) | instskip(SKIP_1) | instid1(VALU_DEP_2)
	v_div_fmas_f64 v[7:8], v[7:8], v[21:22], v[23:24]
	v_dual_mov_b32 v22, 0 :: v_dual_mov_b32 v23, 1
	v_div_fixup_f64 v[3:4], v[7:8], s[20:21], v[3:4]
	s_delay_alu instid0(VALU_DEP_1) | instskip(NEXT) | instid1(VALU_DEP_1)
	v_cvt_i32_f64_e32 v3, v[3:4]
	v_dual_mov_b32 v4, v20 :: v_dual_add_nc_u32 v21, 2, v3
	s_and_saveexec_b32 s15, s0
	s_cbranch_execz .LBB5_31
; %bb.20:                               ;   in Loop: Header=BB5_4 Depth=1
	v_sub_f32_e32 v4, v6, v1
	s_add_u32 s26, s40, s24
	s_addc_u32 s27, s41, s25
	s_cmp_gt_i32 s4, 1
	ds_store_b8 v11, v11 offset:4613
	v_cmp_ge_f32_e32 vcc_lo, s38, v4
	s_cselect_b32 s17, -1, 0
	s_cmp_lt_i32 s4, 2
	v_cndmask_b32_e64 v3, 0, 1, vcc_lo
	s_cbranch_scc1 .LBB5_23
; %bb.21:                               ;   in Loop: Header=BB5_4 Depth=1
	v_cmp_gt_f32_e64 s3, v4, -s38
	s_mov_b64 s[30:31], s[26:27]
	s_mov_b32 s23, s22
	s_delay_alu instid0(VALU_DEP_1)
	s_and_b32 s3, vcc_lo, s3
	s_add_u32 s28, s48, s24
	v_cndmask_b32_e64 v4, v4, -s38, s3
	s_addc_u32 s29, s49, s25
	s_set_inst_prefetch_distance 0x1
	.p2align	6
.LBB5_22:                               ;   Parent Loop BB5_4 Depth=1
                                        ; =>  This Inner Loop Header: Depth=2
	s_clause 0x1
	global_load_b32 v7, v11, s[30:31]
	global_load_b32 v8, v11, s[28:29]
	s_add_i32 s23, s23, -1
	s_waitcnt vmcnt(1)
	v_div_scale_f32 v22, null, v4, v4, v7
	v_div_scale_f32 v25, vcc_lo, v7, v4, v7
	s_waitcnt vmcnt(0)
	v_sub_f32_e32 v8, v8, v1
	s_delay_alu instid0(VALU_DEP_3) | instskip(SKIP_2) | instid1(VALU_DEP_1)
	v_rcp_f32_e32 v23, v22
	s_waitcnt_depctr 0xfff
	v_fma_f32 v24, -v22, v23, 1.0
	v_fmac_f32_e32 v23, v24, v23
	s_delay_alu instid0(VALU_DEP_1) | instskip(NEXT) | instid1(VALU_DEP_1)
	v_mul_f32_e32 v24, v25, v23
	v_fma_f32 v26, -v22, v24, v25
	s_delay_alu instid0(VALU_DEP_1) | instskip(NEXT) | instid1(VALU_DEP_1)
	v_fmac_f32_e32 v24, v26, v23
	v_fma_f32 v22, -v22, v24, v25
	s_delay_alu instid0(VALU_DEP_1) | instskip(NEXT) | instid1(VALU_DEP_1)
	v_div_fmas_f32 v22, v22, v23, v24
	v_div_fixup_f32 v4, v22, v4, v7
	s_delay_alu instid0(VALU_DEP_1) | instskip(NEXT) | instid1(VALU_DEP_1)
	v_sub_f32_e32 v4, v8, v4
	v_cmp_ge_f32_e32 vcc_lo, s38, v4
	v_cmp_gt_f32_e64 s44, v4, -s38
	v_add_co_ci_u32_e64 v3, s3, 0, v3, vcc_lo
	s_delay_alu instid0(VALU_DEP_2)
	s_and_b32 s3, vcc_lo, s44
	s_add_u32 s30, s30, 4
	v_cndmask_b32_e64 v4, v4, -s38, s3
	s_addc_u32 s31, s31, 0
	s_add_u32 s28, s28, 4
	s_addc_u32 s29, s29, 0
	s_cmp_lg_u32 s23, 0
	s_cbranch_scc1 .LBB5_22
.LBB5_23:                               ;   in Loop: Header=BB5_4 Depth=1
	s_set_inst_prefetch_distance 0x2
	v_sub_f32_e32 v6, v6, v2
	s_and_not1_b32 vcc_lo, exec_lo, s17
	s_delay_alu instid0(VALU_DEP_1) | instskip(NEXT) | instid1(VALU_DEP_1)
	v_cmp_ge_f32_e64 s3, s38, v6
	v_cndmask_b32_e64 v4, 0, 1, s3
	s_cbranch_vccnz .LBB5_26
; %bb.24:                               ;   in Loop: Header=BB5_4 Depth=1
	v_cmp_gt_f32_e64 s17, v6, -s38
	s_delay_alu instid0(VALU_DEP_1)
	s_and_b32 s3, s3, s17
	s_add_u32 s28, s48, s24
	v_cndmask_b32_e64 v6, v6, -s38, s3
	s_addc_u32 s29, s49, s25
	s_mov_b32 s17, s22
	s_set_inst_prefetch_distance 0x1
	.p2align	6
.LBB5_25:                               ;   Parent Loop BB5_4 Depth=1
                                        ; =>  This Inner Loop Header: Depth=2
	s_clause 0x1
	global_load_b32 v7, v11, s[26:27]
	global_load_b32 v8, v11, s[28:29]
	s_add_i32 s17, s17, -1
	s_waitcnt vmcnt(1)
	v_div_scale_f32 v22, null, v6, v6, v7
	v_div_scale_f32 v25, vcc_lo, v7, v6, v7
	s_waitcnt vmcnt(0)
	v_sub_f32_e32 v8, v8, v2
	s_delay_alu instid0(VALU_DEP_3) | instskip(SKIP_2) | instid1(VALU_DEP_1)
	v_rcp_f32_e32 v23, v22
	s_waitcnt_depctr 0xfff
	v_fma_f32 v24, -v22, v23, 1.0
	v_fmac_f32_e32 v23, v24, v23
	s_delay_alu instid0(VALU_DEP_1) | instskip(NEXT) | instid1(VALU_DEP_1)
	v_mul_f32_e32 v24, v25, v23
	v_fma_f32 v26, -v22, v24, v25
	s_delay_alu instid0(VALU_DEP_1) | instskip(NEXT) | instid1(VALU_DEP_1)
	v_fmac_f32_e32 v24, v26, v23
	v_fma_f32 v22, -v22, v24, v25
	s_delay_alu instid0(VALU_DEP_1) | instskip(NEXT) | instid1(VALU_DEP_1)
	v_div_fmas_f32 v22, v22, v23, v24
	v_div_fixup_f32 v6, v22, v6, v7
	s_delay_alu instid0(VALU_DEP_1) | instskip(NEXT) | instid1(VALU_DEP_1)
	v_sub_f32_e32 v6, v8, v6
	v_cmp_ge_f32_e32 vcc_lo, s38, v6
	v_cmp_gt_f32_e64 s23, v6, -s38
	v_add_co_ci_u32_e64 v4, s3, 0, v4, vcc_lo
	s_delay_alu instid0(VALU_DEP_2)
	s_and_b32 s3, vcc_lo, s23
	s_add_u32 s26, s26, 4
	v_cndmask_b32_e64 v6, v6, -s38, s3
	s_addc_u32 s27, s27, 0
	s_add_u32 s28, s28, 4
	s_addc_u32 s29, s29, 0
	s_cmp_lg_u32 s17, 0
	s_cbranch_scc1 .LBB5_25
.LBB5_26:                               ;   in Loop: Header=BB5_4 Depth=1
	s_set_inst_prefetch_distance 0x2
	s_delay_alu instid0(VALU_DEP_1) | instskip(NEXT) | instid1(VALU_DEP_1)
	v_sub_nc_u32_e32 v6, v4, v3
	v_cmp_gt_i32_e32 vcc_lo, 1, v6
	s_cbranch_vccz .LBB5_28
; %bb.27:                               ;   in Loop: Header=BB5_4 Depth=1
	s_add_u32 s26, s36, s8
	s_addc_u32 s27, s37, s9
	s_mov_b32 s3, 1
	s_mov_b32 s17, 0
	ds_store_b8 v11, v11 offset:4612
	global_store_b32 v11, v11, s[26:27]
	s_cbranch_execz .LBB5_29
	s_branch .LBB5_30
.LBB5_28:                               ;   in Loop: Header=BB5_4 Depth=1
                                        ; implicit-def: $sgpr17
                                        ; implicit-def: $sgpr3
.LBB5_29:                               ;   in Loop: Header=BB5_4 Depth=1
	s_add_i32 s3, s16, s5
	s_mov_b32 s17, 0
	s_lshl_b32 s26, s3, 1
	s_mov_b32 s3, 1
	s_ashr_i32 s27, s26, 31
	ds_store_b8 v11, v15 offset:4612
	s_lshl_b64 s[26:27], s[26:27], 2
	s_delay_alu instid0(SALU_CYCLE_1)
	s_add_u32 s28, s42, s26
	s_addc_u32 s29, s43, s27
	s_add_u32 s30, s36, s8
	s_addc_u32 s31, s37, s9
	;; [unrolled: 2-line block ×3, first 2 shown]
	s_clause 0x2
	global_store_b64 v11, v[1:2], s[28:29]
	global_store_b32 v11, v6, s[30:31]
	global_store_b64 v11, v[3:4], s[26:27]
.LBB5_30:                               ;   in Loop: Header=BB5_4 Depth=1
	v_dual_mov_b32 v22, s17 :: v_dual_mov_b32 v23, s3
.LBB5_31:                               ;   in Loop: Header=BB5_4 Depth=1
	s_or_b32 exec_lo, exec_lo, s15
.LBB5_32:                               ;   in Loop: Header=BB5_4 Depth=1
	s_waitcnt lgkmcnt(0)
	s_waitcnt_vscnt null, 0x0
	s_barrier
	buffer_gl0_inv
	ds_load_u8 v1, v11 offset:4612
	s_mov_b32 s3, 0
	s_waitcnt lgkmcnt(0)
	v_cmp_eq_u32_e32 vcc_lo, 0, v1
	s_cbranch_vccnz .LBB5_71
; %bb.33:                               ;   in Loop: Header=BB5_4 Depth=1
	ds_load_u8 v1, v11 offset:4613
	v_cmp_lt_i32_e32 vcc_lo, v22, v21
	v_mov_b32_e32 v24, v17
	s_waitcnt lgkmcnt(0)
	v_readfirstlane_b32 s3, v1
	s_delay_alu instid0(VALU_DEP_1) | instskip(SKIP_1) | instid1(SALU_CYCLE_1)
	s_bitcmp1_b32 s3, 0
	s_cselect_b32 s3, -1, 0
	s_xor_b32 s15, s3, -1
	s_mov_b32 s3, -1
	s_and_b32 s17, s15, vcc_lo
	s_delay_alu instid0(SALU_CYCLE_1)
	s_and_saveexec_b32 s15, s17
	s_cbranch_execz .LBB5_73
; %bb.34:                               ;   in Loop: Header=BB5_4 Depth=1
	v_cndmask_b32_e64 v1, s6, v5, s2
	s_add_i32 s3, s16, s5
	s_mov_b32 s45, 0
	s_lshl_b32 s17, s3, 1
	s_cmp_gt_i32 s4, 1
	v_cmp_gt_f32_e32 vcc_lo, s38, v1
	s_cselect_b32 s23, -1, 0
	s_lshl_b32 s44, s16, 1
	s_add_u32 s26, s40, s24
	s_addc_u32 s27, s41, s25
	v_cndmask_b32_e64 v25, v1, s38, vcc_lo
	s_add_u32 s24, s48, s24
	s_addc_u32 s25, s49, s25
                                        ; implicit-def: $sgpr46
	s_branch .LBB5_37
.LBB5_35:                               ;   in Loop: Header=BB5_37 Depth=2
	ds_load_u8 v1, v11 offset:4613
	v_cmp_ge_i32_e64 s3, v22, v21
	s_waitcnt lgkmcnt(0)
	v_and_b32_e32 v1, 1, v1
	s_delay_alu instid0(VALU_DEP_1) | instskip(NEXT) | instid1(VALU_DEP_3)
	v_cmp_eq_u32_e32 vcc_lo, 1, v1
	s_or_b32 s4, vcc_lo, s3
	s_mov_b32 s3, -1
	s_or_not1_b32 s4, s4, exec_lo
.LBB5_36:                               ;   in Loop: Header=BB5_37 Depth=2
	s_delay_alu instid0(SALU_CYCLE_1) | instskip(NEXT) | instid1(SALU_CYCLE_1)
	s_and_b32 s4, exec_lo, s4
	s_or_b32 s45, s4, s45
	s_and_not1_b32 s4, s46, exec_lo
	s_and_b32 s3, s3, exec_lo
	s_delay_alu instid0(SALU_CYCLE_1)
	s_or_b32 s46, s4, s3
	s_and_not1_b32 exec_lo, exec_lo, s45
	s_cbranch_execz .LBB5_72
.LBB5_37:                               ;   Parent Loop BB5_4 Depth=1
                                        ; =>  This Loop Header: Depth=2
                                        ;       Child Loop BB5_42 Depth 3
                                        ;         Child Loop BB5_45 Depth 4
                                        ;         Child Loop BB5_58 Depth 4
	s_and_saveexec_b32 s3, s0
	s_cbranch_execz .LBB5_39
; %bb.38:                               ;   in Loop: Header=BB5_37 Depth=2
	ds_store_b32 v11, v11 offset:4608
.LBB5_39:                               ;   in Loop: Header=BB5_37 Depth=2
	s_or_b32 exec_lo, exec_lo, s3
	v_dual_mov_b32 v2, s44 :: v_dual_and_b32 v1, 1, v22
	s_mov_b32 s47, exec_lo
	s_delay_alu instid0(VALU_DEP_1) | instskip(NEXT) | instid1(VALU_DEP_2)
	v_cmp_eq_u32_e32 vcc_lo, 0, v1
	v_cndmask_b32_e32 v24, s17, v2, vcc_lo
	v_cmpx_lt_i32_e32 0, v23
	s_cbranch_execz .LBB5_66
; %bb.40:                               ;   in Loop: Header=BB5_37 Depth=2
	v_mov_b32_e32 v1, s17
	s_mov_b32 s50, 0
	s_mov_b32 s51, 0
	s_delay_alu instid0(VALU_DEP_1)
	v_cndmask_b32_e32 v26, s44, v1, vcc_lo
	s_branch .LBB5_42
.LBB5_41:                               ;   in Loop: Header=BB5_42 Depth=3
	s_or_b32 exec_lo, exec_lo, s3
	s_addk_i32 s51, 0x80
	s_waitcnt lgkmcnt(0)
	v_cmp_ge_i32_e32 vcc_lo, s51, v23
	s_barrier
	buffer_gl0_inv
	s_or_b32 s50, vcc_lo, s50
	s_delay_alu instid0(SALU_CYCLE_1)
	s_and_not1_b32 exec_lo, exec_lo, s50
	s_cbranch_execz .LBB5_65
.LBB5_42:                               ;   Parent Loop BB5_4 Depth=1
                                        ;     Parent Loop BB5_37 Depth=2
                                        ; =>    This Loop Header: Depth=3
                                        ;         Child Loop BB5_45 Depth 4
                                        ;         Child Loop BB5_58 Depth 4
	v_add_nc_u32_e32 v1, s51, v0
	s_delay_alu instid0(VALU_DEP_1) | instskip(NEXT) | instid1(VALU_DEP_1)
	v_cmp_lt_i32_e64 s3, v1, v23
	s_and_saveexec_b32 s66, s3
	s_cbranch_execz .LBB5_55
; %bb.43:                               ;   in Loop: Header=BB5_42 Depth=3
	v_lshl_add_u32 v1, v1, 1, v26
	s_delay_alu instid0(VALU_DEP_1) | instskip(NEXT) | instid1(VALU_DEP_1)
	v_ashrrev_i32_e32 v2, 31, v1
	v_lshlrev_b64 v[3:4], 2, v[1:2]
	s_delay_alu instid0(VALU_DEP_1) | instskip(NEXT) | instid1(VALU_DEP_2)
	v_add_co_u32 v1, vcc_lo, s42, v3
	v_add_co_ci_u32_e32 v2, vcc_lo, s43, v4, vcc_lo
	v_add_co_u32 v3, vcc_lo, s61, v3
	v_add_co_ci_u32_e32 v4, vcc_lo, s62, v4, vcc_lo
	global_load_b64 v[7:8], v[1:2], off
	global_load_b32 v2, v11, s[18:19]
	s_and_not1_b32 vcc_lo, exec_lo, s23
	global_load_b64 v[3:4], v[3:4], off
	s_waitcnt vmcnt(2)
	v_add_f32_e32 v1, v7, v8
	s_waitcnt vmcnt(1)
	s_delay_alu instid0(VALU_DEP_1) | instskip(SKIP_1) | instid1(VALU_DEP_2)
	v_fmac_f32_e32 v2, -0.5, v1
	v_mul_f32_e32 v6, 0.5, v1
	v_cmp_ge_f32_e64 s4, s38, v2
	s_delay_alu instid0(VALU_DEP_1)
	v_cndmask_b32_e64 v1, 0, 1, s4
	s_cbranch_vccnz .LBB5_46
; %bb.44:                               ;   in Loop: Header=BB5_42 Depth=3
	v_cmp_gt_f32_e64 s28, v2, -s38
	s_mov_b64 s[30:31], s[26:27]
	s_mov_b32 s67, s22
	s_delay_alu instid0(VALU_DEP_1)
	s_and_b32 s4, s4, s28
	s_mov_b64 s[28:29], s[24:25]
	v_cndmask_b32_e64 v2, v2, -s38, s4
	s_set_inst_prefetch_distance 0x1
	.p2align	6
.LBB5_45:                               ;   Parent Loop BB5_4 Depth=1
                                        ;     Parent Loop BB5_37 Depth=2
                                        ;       Parent Loop BB5_42 Depth=3
                                        ; =>      This Inner Loop Header: Depth=4
	s_clause 0x1
	global_load_b32 v5, v11, s[30:31]
	global_load_b32 v27, v11, s[28:29]
	s_add_i32 s67, s67, -1
	s_waitcnt vmcnt(1)
	v_div_scale_f32 v28, null, v2, v2, v5
	v_div_scale_f32 v31, vcc_lo, v5, v2, v5
	s_waitcnt vmcnt(0)
	v_sub_f32_e32 v27, v27, v6
	s_delay_alu instid0(VALU_DEP_3) | instskip(SKIP_2) | instid1(VALU_DEP_1)
	v_rcp_f32_e32 v29, v28
	s_waitcnt_depctr 0xfff
	v_fma_f32 v30, -v28, v29, 1.0
	v_fmac_f32_e32 v29, v30, v29
	s_delay_alu instid0(VALU_DEP_1) | instskip(NEXT) | instid1(VALU_DEP_1)
	v_mul_f32_e32 v30, v31, v29
	v_fma_f32 v32, -v28, v30, v31
	s_delay_alu instid0(VALU_DEP_1) | instskip(NEXT) | instid1(VALU_DEP_1)
	v_fmac_f32_e32 v30, v32, v29
	v_fma_f32 v28, -v28, v30, v31
	s_delay_alu instid0(VALU_DEP_1) | instskip(NEXT) | instid1(VALU_DEP_1)
	v_div_fmas_f32 v28, v28, v29, v30
	v_div_fixup_f32 v2, v28, v2, v5
	s_delay_alu instid0(VALU_DEP_1) | instskip(NEXT) | instid1(VALU_DEP_1)
	v_sub_f32_e32 v2, v27, v2
	v_cmp_ge_f32_e32 vcc_lo, s38, v2
	v_cmp_gt_f32_e64 s68, v2, -s38
	v_add_co_ci_u32_e64 v1, s4, 0, v1, vcc_lo
	s_delay_alu instid0(VALU_DEP_2)
	s_and_b32 s4, vcc_lo, s68
	s_add_u32 s30, s30, 4
	v_cndmask_b32_e64 v2, v2, -s38, s4
	s_addc_u32 s31, s31, 0
	s_add_u32 s28, s28, 4
	s_addc_u32 s29, s29, 0
	s_cmp_lg_u32 s67, 0
	s_cbranch_scc1 .LBB5_45
.LBB5_46:                               ;   in Loop: Header=BB5_42 Depth=3
	s_set_inst_prefetch_distance 0x2
	s_waitcnt vmcnt(0)
	s_delay_alu instid0(VALU_DEP_1) | instskip(SKIP_1) | instid1(VALU_DEP_1)
	v_max_i32_e32 v1, v1, v3
	s_mov_b32 s4, exec_lo
	v_min_i32_e32 v2, v1, v4
	s_delay_alu instid0(VALU_DEP_1)
	v_cmpx_ne_u32_e64 v2, v3
	s_xor_b32 s4, exec_lo, s4
	s_cbranch_execz .LBB5_52
; %bb.47:                               ;   in Loop: Header=BB5_42 Depth=3
	s_mov_b32 s28, exec_lo
	v_cmpx_le_i32_e64 v4, v1
	s_xor_b32 s28, exec_lo, s28
	s_cbranch_execz .LBB5_49
; %bb.48:                               ;   in Loop: Header=BB5_42 Depth=3
	v_dual_mov_b32 v8, v6 :: v_dual_mov_b32 v1, v3
	ds_store_b32 v9, v11
	ds_store_b64 v10, v[7:8]
	ds_store_b64 v12, v[1:2]
                                        ; implicit-def: $vgpr7
.LBB5_49:                               ;   in Loop: Header=BB5_42 Depth=3
	s_and_not1_saveexec_b32 s28, s28
	s_cbranch_execz .LBB5_51
; %bb.50:                               ;   in Loop: Header=BB5_42 Depth=3
	v_mov_b32_e32 v5, v7
	v_mov_b32_e32 v7, v6
	;; [unrolled: 1-line block ×4, first 2 shown]
	ds_store_b32 v9, v15
	ds_store_b128 v10, v[5:8]
	ds_store_b128 v12, v[1:4]
.LBB5_51:                               ;   in Loop: Header=BB5_42 Depth=3
	s_or_b32 exec_lo, exec_lo, s28
                                        ; implicit-def: $vgpr6
.LBB5_52:                               ;   in Loop: Header=BB5_42 Depth=3
	s_and_not1_saveexec_b32 s4, s4
	s_cbranch_execz .LBB5_54
; %bb.53:                               ;   in Loop: Header=BB5_42 Depth=3
	v_mov_b32_e32 v7, v8
	ds_store_b32 v9, v11
	ds_store_b64 v10, v[6:7]
	ds_store_b64 v12, v[3:4]
.LBB5_54:                               ;   in Loop: Header=BB5_42 Depth=3
	s_or_b32 exec_lo, exec_lo, s4
.LBB5_55:                               ;   in Loop: Header=BB5_42 Depth=3
	s_delay_alu instid0(SALU_CYCLE_1)
	s_or_b32 exec_lo, exec_lo, s66
	s_waitcnt lgkmcnt(0)
	s_barrier
	buffer_gl0_inv
	s_and_saveexec_b32 s4, s3
	s_cbranch_execz .LBB5_63
; %bb.56:                               ;   in Loop: Header=BB5_42 Depth=3
	v_mov_b32_e32 v4, 0
	s_and_saveexec_b32 s3, s1
	s_cbranch_execz .LBB5_60
; %bb.57:                               ;   in Loop: Header=BB5_42 Depth=3
	v_dual_mov_b32 v4, 0 :: v_dual_mov_b32 v1, v0
	s_movk_i32 s29, 0x1000
	s_mov_b32 s28, 0
.LBB5_58:                               ;   Parent Loop BB5_4 Depth=1
                                        ;     Parent Loop BB5_37 Depth=2
                                        ;       Parent Loop BB5_42 Depth=3
                                        ; =>      This Inner Loop Header: Depth=4
	s_delay_alu instid0(VALU_DEP_1)
	v_dual_mov_b32 v2, s29 :: v_dual_add_nc_u32 v1, -1, v1
	s_add_i32 s29, s29, 4
	ds_load_b32 v2, v2
	v_cmp_eq_u32_e32 vcc_lo, 0, v1
	s_or_b32 s28, vcc_lo, s28
	s_waitcnt lgkmcnt(0)
	v_add_nc_u32_e32 v4, v2, v4
	s_and_not1_b32 exec_lo, exec_lo, s28
	s_cbranch_execnz .LBB5_58
; %bb.59:                               ;   in Loop: Header=BB5_42 Depth=3
	s_or_b32 exec_lo, exec_lo, s28
.LBB5_60:                               ;   in Loop: Header=BB5_42 Depth=3
	s_delay_alu instid0(SALU_CYCLE_1)
	s_or_b32 exec_lo, exec_lo, s3
	ds_load_b32 v1, v11 offset:4608
	ds_load_b64 v[7:8], v12
	ds_load_b32 v3, v9
	ds_load_b64 v[27:28], v10
	s_mov_b32 s3, exec_lo
	s_waitcnt lgkmcnt(3)
	v_add3_u32 v1, v4, v0, v1
	s_delay_alu instid0(VALU_DEP_1) | instskip(NEXT) | instid1(VALU_DEP_1)
	v_lshl_add_u32 v1, v1, 1, v24
	v_ashrrev_i32_e32 v2, 31, v1
	s_delay_alu instid0(VALU_DEP_1) | instskip(NEXT) | instid1(VALU_DEP_1)
	v_lshlrev_b64 v[5:6], 2, v[1:2]
	v_add_co_u32 v1, vcc_lo, s42, v5
	s_delay_alu instid0(VALU_DEP_2)
	v_add_co_ci_u32_e32 v2, vcc_lo, s43, v6, vcc_lo
	v_add_co_u32 v5, vcc_lo, s61, v5
	v_add_co_ci_u32_e32 v6, vcc_lo, s62, v6, vcc_lo
	s_waitcnt lgkmcnt(0)
	global_store_b64 v[1:2], v[27:28], off
	global_store_b64 v[5:6], v[7:8], off
	v_cmpx_ne_u32_e32 0, v3
	s_cbranch_execz .LBB5_62
; %bb.61:                               ;   in Loop: Header=BB5_42 Depth=3
	ds_load_b64 v[7:8], v10 offset:8
	ds_load_b64 v[27:28], v12 offset:8
	s_waitcnt lgkmcnt(1)
	global_store_b64 v[1:2], v[7:8], off offset:8
	s_waitcnt lgkmcnt(0)
	global_store_b64 v[5:6], v[27:28], off offset:8
.LBB5_62:                               ;   in Loop: Header=BB5_42 Depth=3
	s_or_b32 exec_lo, exec_lo, s3
.LBB5_63:                               ;   in Loop: Header=BB5_42 Depth=3
	s_delay_alu instid0(SALU_CYCLE_1)
	s_or_b32 exec_lo, exec_lo, s4
	v_subrev_nc_u32_e32 v1, s51, v23
	s_mov_b32 s3, exec_lo
	s_waitcnt_vscnt null, 0x0
	s_barrier
	buffer_gl0_inv
	v_min_i32_e32 v1, 0x80, v1
	s_delay_alu instid0(VALU_DEP_1) | instskip(NEXT) | instid1(VALU_DEP_1)
	v_add_nc_u32_e32 v2, -1, v1
	v_cmpx_eq_u32_e64 v2, v0
	s_cbranch_execz .LBB5_41
; %bb.64:                               ;   in Loop: Header=BB5_42 Depth=3
	ds_load_b32 v2, v9
	ds_load_b32 v3, v11 offset:4608
	v_add_nc_u32_e32 v1, v4, v1
	s_waitcnt lgkmcnt(0)
	s_delay_alu instid0(VALU_DEP_1)
	v_add3_u32 v1, v1, v2, v3
	ds_store_b32 v11, v1 offset:4608
	s_branch .LBB5_41
.LBB5_65:                               ;   in Loop: Header=BB5_37 Depth=2
	s_or_b32 exec_lo, exec_lo, s50
.LBB5_66:                               ;   in Loop: Header=BB5_37 Depth=2
	s_delay_alu instid0(SALU_CYCLE_1)
	s_or_b32 exec_lo, exec_lo, s47
	ds_load_b32 v23, v11 offset:4608
	s_and_saveexec_b32 s3, s0
	s_cbranch_execz .LBB5_69
; %bb.67:                               ;   in Loop: Header=BB5_37 Depth=2
	ds_load_b64 v[1:2], v11
	s_waitcnt lgkmcnt(0)
	v_cmp_lt_f32_e64 vcc_lo, |v1|, |v2|
	v_cndmask_b32_e32 v3, v1, v2, vcc_lo
	s_delay_alu instid0(VALU_DEP_1) | instskip(NEXT) | instid1(VALU_DEP_1)
	v_mul_f32_e64 v3, v13, |v3|
	v_cmp_lt_f32_e32 vcc_lo, v25, v3
	v_dual_sub_f32 v1, v2, v1 :: v_dual_cndmask_b32 v2, v25, v3
	s_delay_alu instid0(VALU_DEP_1)
	v_cmp_nlt_f32_e32 vcc_lo, v1, v2
	s_cbranch_vccnz .LBB5_69
; %bb.68:                               ;   in Loop: Header=BB5_37 Depth=2
	ds_store_b8 v11, v15 offset:4613
.LBB5_69:                               ;   in Loop: Header=BB5_37 Depth=2
	s_or_b32 exec_lo, exec_lo, s3
	s_waitcnt lgkmcnt(0)
	s_barrier
	buffer_gl0_inv
	ds_load_u8 v1, v11 offset:4612
	v_add_nc_u32_e32 v22, 1, v22
	s_waitcnt lgkmcnt(0)
	v_and_b32_e32 v1, 1, v1
	s_delay_alu instid0(VALU_DEP_1)
	v_cmp_eq_u32_e32 vcc_lo, 1, v1
	s_cbranch_vccnz .LBB5_35
; %bb.70:                               ;   in Loop: Header=BB5_37 Depth=2
	s_mov_b32 s4, -1
	s_mov_b32 s3, 0
	s_branch .LBB5_36
.LBB5_71:                               ;   in Loop: Header=BB5_4 Depth=1
	v_mov_b32_e32 v24, v17
	s_and_saveexec_b32 s4, s0
	s_cbranch_execnz .LBB5_74
	s_branch .LBB5_88
.LBB5_72:                               ;   in Loop: Header=BB5_4 Depth=1
	s_or_b32 exec_lo, exec_lo, s45
	s_delay_alu instid0(SALU_CYCLE_1)
	s_or_not1_b32 s3, s46, exec_lo
.LBB5_73:                               ;   in Loop: Header=BB5_4 Depth=1
	s_or_b32 exec_lo, exec_lo, s15
	s_and_saveexec_b32 s4, s0
	s_cbranch_execz .LBB5_88
.LBB5_74:                               ;   in Loop: Header=BB5_4 Depth=1
	s_and_saveexec_b32 s15, s3
	s_cbranch_execz .LBB5_87
; %bb.75:                               ;   in Loop: Header=BB5_4 Depth=1
	ds_load_u8 v1, v11 offset:4613
	s_mov_b32 s18, exec_lo
	s_waitcnt lgkmcnt(0)
	v_readfirstlane_b32 s3, v1
	s_delay_alu instid0(VALU_DEP_1)
	s_bitcmp1_b32 s3, 0
	s_cselect_b32 s17, -1, 0
	v_cmpx_lt_i32_e32 0, v23
	s_cbranch_execz .LBB5_84
; %bb.76:                               ;   in Loop: Header=BB5_4 Depth=1
	v_mov_b32_e32 v7, 0
	s_add_i32 s3, s14, 1
	s_not_b32 s19, s14
	s_and_b32 s22, s17, exec_lo
	s_cselect_b32 s22, s3, s19
	s_mov_b32 s19, 0
	s_mov_b32 s23, 0
.LBB5_77:                               ;   Parent Loop BB5_4 Depth=1
                                        ; =>  This Loop Header: Depth=2
                                        ;       Child Loop BB5_79 Depth 3
	s_delay_alu instid0(SALU_CYCLE_1) | instskip(SKIP_1) | instid1(VALU_DEP_1)
	v_lshl_add_u32 v1, s23, 1, v24
	s_mov_b32 s24, exec_lo
	v_ashrrev_i32_e32 v2, 31, v1
	s_delay_alu instid0(VALU_DEP_1) | instskip(NEXT) | instid1(VALU_DEP_1)
	v_lshlrev_b64 v[1:2], 2, v[1:2]
	v_add_co_u32 v3, vcc_lo, s61, v1
	s_delay_alu instid0(VALU_DEP_2) | instskip(SKIP_3) | instid1(VALU_DEP_1)
	v_add_co_ci_u32_e32 v4, vcc_lo, s62, v2, vcc_lo
	global_load_b64 v[3:4], v[3:4], off
	s_waitcnt vmcnt(0)
	v_sub_nc_u32_e32 v3, v4, v3
	v_cmpx_lt_i32_e32 0, v3
	s_cbranch_execz .LBB5_81
; %bb.78:                               ;   in Loop: Header=BB5_77 Depth=2
	v_add_co_u32 v1, vcc_lo, s42, v1
	v_add_co_ci_u32_e32 v2, vcc_lo, s43, v2, vcc_lo
	s_mov_b32 s25, 0
	s_mov_b32 s26, 0
	global_load_b64 v[1:2], v[1:2], off
	s_waitcnt vmcnt(0)
	v_dual_add_f32 v8, v1, v2 :: v_dual_add_nc_u32 v5, s16, v7
	s_delay_alu instid0(VALU_DEP_1) | instskip(NEXT) | instid1(VALU_DEP_2)
	v_ashrrev_i32_e32 v6, 31, v5
	v_mul_f32_e32 v8, 0.5, v8
	s_delay_alu instid0(VALU_DEP_2) | instskip(NEXT) | instid1(VALU_DEP_1)
	v_lshlrev_b64 v[5:6], 2, v[5:6]
	v_add_co_u32 v1, vcc_lo, s55, v5
	s_delay_alu instid0(VALU_DEP_2)
	v_add_co_ci_u32_e32 v2, vcc_lo, s56, v6, vcc_lo
	v_add_co_u32 v5, vcc_lo, s57, v5
	v_add_co_ci_u32_e32 v6, vcc_lo, s58, v6, vcc_lo
	.p2align	6
.LBB5_79:                               ;   Parent Loop BB5_4 Depth=1
                                        ;     Parent Loop BB5_77 Depth=2
                                        ; =>    This Inner Loop Header: Depth=3
	s_add_i32 s26, s26, 1
	s_delay_alu instid0(SALU_CYCLE_1)
	v_dual_mov_b32 v26, s22 :: v_dual_add_nc_u32 v25, s26, v7
	global_store_b32 v[1:2], v8, off
	v_add_co_u32 v1, vcc_lo, v1, 4
	v_add_co_ci_u32_e32 v2, vcc_lo, 0, v2, vcc_lo
	v_cmp_ge_i32_e32 vcc_lo, s26, v3
	global_store_b32 v[5:6], v26, off
	v_add_co_u32 v5, s3, v5, 4
	s_delay_alu instid0(VALU_DEP_1) | instskip(SKIP_1) | instid1(SALU_CYCLE_1)
	v_add_co_ci_u32_e64 v6, s3, 0, v6, s3
	s_or_b32 s25, vcc_lo, s25
	s_and_not1_b32 exec_lo, exec_lo, s25
	s_cbranch_execnz .LBB5_79
; %bb.80:                               ;   in Loop: Header=BB5_77 Depth=2
	s_or_b32 exec_lo, exec_lo, s25
	v_mov_b32_e32 v7, v25
.LBB5_81:                               ;   in Loop: Header=BB5_77 Depth=2
	s_or_b32 exec_lo, exec_lo, s24
; %bb.82:                               ;   in Loop: Header=BB5_77 Depth=2
	s_add_i32 s23, s23, 1
	s_delay_alu instid0(SALU_CYCLE_1) | instskip(SKIP_1) | instid1(SALU_CYCLE_1)
	v_cmp_eq_u32_e32 vcc_lo, s23, v23
	s_or_b32 s19, vcc_lo, s19
	s_and_not1_b32 exec_lo, exec_lo, s19
	s_cbranch_execnz .LBB5_77
; %bb.83:                               ;   in Loop: Header=BB5_4 Depth=1
	s_or_b32 exec_lo, exec_lo, s19
.LBB5_84:                               ;   in Loop: Header=BB5_4 Depth=1
	s_delay_alu instid0(SALU_CYCLE_1)
	s_or_b32 exec_lo, exec_lo, s18
	s_xor_b32 s3, s17, -1
; %bb.85:                               ;   in Loop: Header=BB5_4 Depth=1
	s_delay_alu instid0(SALU_CYCLE_1)
	s_and_b32 vcc_lo, exec_lo, s3
	s_cbranch_vccz .LBB5_87
; %bb.86:                               ;   in Loop: Header=BB5_4 Depth=1
	global_store_b32 v11, v15, s[12:13]
.LBB5_87:                               ;   in Loop: Header=BB5_4 Depth=1
	s_or_b32 exec_lo, exec_lo, s15
.LBB5_88:                               ;   in Loop: Header=BB5_4 Depth=1
	s_delay_alu instid0(SALU_CYCLE_1)
	s_or_b32 exec_lo, exec_lo, s4
	s_branch .LBB5_3
.LBB5_89:                               ;   in Loop: Header=BB5_4 Depth=1
	s_and_saveexec_b32 s3, s0
	s_cbranch_execz .LBB5_2
; %bb.90:                               ;   in Loop: Header=BB5_4 Depth=1
	s_ashr_i32 s17, s16, 31
	s_delay_alu instid0(SALU_CYCLE_1) | instskip(NEXT) | instid1(SALU_CYCLE_1)
	s_lshl_b64 s[16:17], s[16:17], 2
	s_add_u32 s18, s7, s16
	s_addc_u32 s19, s52, s17
	s_and_not1_b32 vcc_lo, exec_lo, s63
	global_load_b32 v1, v11, s[18:19]
	s_cbranch_vccnz .LBB5_94
; %bb.91:                               ;   in Loop: Header=BB5_4 Depth=1
	global_load_b32 v3, v11, s[10:11]
	s_waitcnt vmcnt(1)
	v_subrev_f32_e32 v2, s38, v1
	s_mov_b32 s4, 0
	s_waitcnt vmcnt(0)
	s_delay_alu instid0(VALU_DEP_1)
	v_cmp_lt_f32_e32 vcc_lo, v3, v2
	v_cmp_nlt_f32_e64 s15, v3, v2
	s_cbranch_vccnz .LBB5_95
; %bb.92:                               ;   in Loop: Header=BB5_4 Depth=1
	s_delay_alu instid0(VALU_DEP_1)
	s_and_not1_b32 vcc_lo, exec_lo, s15
	s_cbranch_vccz .LBB5_96
.LBB5_93:                               ;   in Loop: Header=BB5_4 Depth=1
	s_and_b32 vcc_lo, exec_lo, s4
	s_cbranch_vccz .LBB5_2
	s_branch .LBB5_97
.LBB5_94:                               ;   in Loop: Header=BB5_4 Depth=1
	s_cbranch_execz .LBB5_2
	s_branch .LBB5_97
.LBB5_95:                               ;   in Loop: Header=BB5_4 Depth=1
	global_load_b32 v3, v11, s[10:11] offset:4
	s_mov_b32 s4, -1
	s_waitcnt vmcnt(0)
	v_cmp_nge_f32_e64 s15, v3, v2
	s_delay_alu instid0(VALU_DEP_1)
	s_and_not1_b32 vcc_lo, exec_lo, s15
	s_cbranch_vccnz .LBB5_93
.LBB5_96:                               ;   in Loop: Header=BB5_4 Depth=1
	s_add_u32 s18, s36, s8
	s_addc_u32 s19, s37, s9
	global_store_b32 v11, v11, s[18:19]
	s_branch .LBB5_2
.LBB5_97:                               ;   in Loop: Header=BB5_4 Depth=1
	s_add_u32 s18, s55, s16
	s_addc_u32 s19, s56, s17
	s_add_u32 s8, s36, s8
	s_addc_u32 s9, s37, s9
	s_add_i32 s4, s14, 1
	s_add_u32 s16, s57, s16
	v_mov_b32_e32 v2, s4
	s_addc_u32 s17, s58, s17
	s_waitcnt vmcnt(0)
	s_clause 0x2
	global_store_b32 v11, v1, s[18:19]
	global_store_b32 v11, v15, s[8:9]
	;; [unrolled: 1-line block ×3, first 2 shown]
	s_branch .LBB5_2
.LBB5_98:
	s_endpgm
	.section	.rodata,"a",@progbits
	.p2align	6, 0x0
	.amdhsa_kernel _ZN9rocsolver6v33100L22stebz_bisection_kernelIfPfEEv15rocblas_erange_iT_T0_iiS5_iiPiPS4_lS6_lS6_lS6_S6_S7_S7_S7_S7_S6_S4_S4_
		.amdhsa_group_segment_fixed_size 4616
		.amdhsa_private_segment_fixed_size 0
		.amdhsa_kernarg_size 168
		.amdhsa_user_sgpr_count 14
		.amdhsa_user_sgpr_dispatch_ptr 0
		.amdhsa_user_sgpr_queue_ptr 0
		.amdhsa_user_sgpr_kernarg_segment_ptr 1
		.amdhsa_user_sgpr_dispatch_id 0
		.amdhsa_user_sgpr_private_segment_size 0
		.amdhsa_wavefront_size32 1
		.amdhsa_uses_dynamic_stack 0
		.amdhsa_enable_private_segment 0
		.amdhsa_system_sgpr_workgroup_id_x 1
		.amdhsa_system_sgpr_workgroup_id_y 1
		.amdhsa_system_sgpr_workgroup_id_z 0
		.amdhsa_system_sgpr_workgroup_info 0
		.amdhsa_system_vgpr_workitem_id 0
		.amdhsa_next_free_vgpr 33
		.amdhsa_next_free_sgpr 69
		.amdhsa_reserve_vcc 1
		.amdhsa_float_round_mode_32 0
		.amdhsa_float_round_mode_16_64 0
		.amdhsa_float_denorm_mode_32 3
		.amdhsa_float_denorm_mode_16_64 3
		.amdhsa_dx10_clamp 1
		.amdhsa_ieee_mode 1
		.amdhsa_fp16_overflow 0
		.amdhsa_workgroup_processor_mode 1
		.amdhsa_memory_ordered 1
		.amdhsa_forward_progress 0
		.amdhsa_shared_vgpr_count 0
		.amdhsa_exception_fp_ieee_invalid_op 0
		.amdhsa_exception_fp_denorm_src 0
		.amdhsa_exception_fp_ieee_div_zero 0
		.amdhsa_exception_fp_ieee_overflow 0
		.amdhsa_exception_fp_ieee_underflow 0
		.amdhsa_exception_fp_ieee_inexact 0
		.amdhsa_exception_int_div_zero 0
	.end_amdhsa_kernel
	.section	.text._ZN9rocsolver6v33100L22stebz_bisection_kernelIfPfEEv15rocblas_erange_iT_T0_iiS5_iiPiPS4_lS6_lS6_lS6_S6_S7_S7_S7_S7_S6_S4_S4_,"axG",@progbits,_ZN9rocsolver6v33100L22stebz_bisection_kernelIfPfEEv15rocblas_erange_iT_T0_iiS5_iiPiPS4_lS6_lS6_lS6_S6_S7_S7_S7_S7_S6_S4_S4_,comdat
.Lfunc_end5:
	.size	_ZN9rocsolver6v33100L22stebz_bisection_kernelIfPfEEv15rocblas_erange_iT_T0_iiS5_iiPiPS4_lS6_lS6_lS6_S6_S7_S7_S7_S7_S6_S4_S4_, .Lfunc_end5-_ZN9rocsolver6v33100L22stebz_bisection_kernelIfPfEEv15rocblas_erange_iT_T0_iiS5_iiPiPS4_lS6_lS6_lS6_S6_S7_S7_S7_S7_S6_S4_S4_
                                        ; -- End function
	.section	.AMDGPU.csdata,"",@progbits
; Kernel info:
; codeLenInByte = 4540
; NumSgprs: 71
; NumVgprs: 33
; ScratchSize: 0
; MemoryBound: 0
; FloatMode: 240
; IeeeMode: 1
; LDSByteSize: 4616 bytes/workgroup (compile time only)
; SGPRBlocks: 8
; VGPRBlocks: 4
; NumSGPRsForWavesPerEU: 71
; NumVGPRsForWavesPerEU: 33
; Occupancy: 16
; WaveLimiterHint : 1
; COMPUTE_PGM_RSRC2:SCRATCH_EN: 0
; COMPUTE_PGM_RSRC2:USER_SGPR: 14
; COMPUTE_PGM_RSRC2:TRAP_HANDLER: 0
; COMPUTE_PGM_RSRC2:TGID_X_EN: 1
; COMPUTE_PGM_RSRC2:TGID_Y_EN: 1
; COMPUTE_PGM_RSRC2:TGID_Z_EN: 0
; COMPUTE_PGM_RSRC2:TIDIG_COMP_CNT: 0
	.section	.text._ZN9rocsolver6v33100L22stebz_synthesis_kernelIfPfEEv15rocblas_erange_15rocblas_eorder_iiiT0_iiPiS6_PT_lS6_lS6_liS6_S8_S8_S8_S8_S6_S7_,"axG",@progbits,_ZN9rocsolver6v33100L22stebz_synthesis_kernelIfPfEEv15rocblas_erange_15rocblas_eorder_iiiT0_iiPiS6_PT_lS6_lS6_liS6_S8_S8_S8_S8_S6_S7_,comdat
	.globl	_ZN9rocsolver6v33100L22stebz_synthesis_kernelIfPfEEv15rocblas_erange_15rocblas_eorder_iiiT0_iiPiS6_PT_lS6_lS6_liS6_S8_S8_S8_S8_S6_S7_ ; -- Begin function _ZN9rocsolver6v33100L22stebz_synthesis_kernelIfPfEEv15rocblas_erange_15rocblas_eorder_iiiT0_iiPiS6_PT_lS6_lS6_liS6_S8_S8_S8_S8_S6_S7_
	.p2align	8
	.type	_ZN9rocsolver6v33100L22stebz_synthesis_kernelIfPfEEv15rocblas_erange_15rocblas_eorder_iiiT0_iiPiS6_PT_lS6_lS6_liS6_S8_S8_S8_S8_S6_S7_,@function
_ZN9rocsolver6v33100L22stebz_synthesis_kernelIfPfEEv15rocblas_erange_15rocblas_eorder_iiiT0_iiPiS6_PT_lS6_lS6_liS6_S8_S8_S8_S8_S6_S7_: ; @_ZN9rocsolver6v33100L22stebz_synthesis_kernelIfPfEEv15rocblas_erange_15rocblas_eorder_iiiT0_iiPiS6_PT_lS6_lS6_liS6_S8_S8_S8_S8_S6_S7_
; %bb.0:
	s_clause 0x1
	s_load_b32 s2, s[0:1], 0xb4
	s_load_b32 s3, s[0:1], 0x68
	s_waitcnt lgkmcnt(0)
	s_and_b32 s2, s2, 0xffff
	s_delay_alu instid0(SALU_CYCLE_1) | instskip(SKIP_1) | instid1(VALU_DEP_1)
	v_mad_u64_u32 v[8:9], null, s15, s2, v[0:1]
	s_mov_b32 s2, exec_lo
	v_cmpx_gt_i32_e64 s3, v8
	s_cbranch_execz .LBB6_61
; %bb.1:
	s_load_b512 s[4:19], s[0:1], 0x28
	v_ashrrev_i32_e32 v9, 31, v8
	s_load_b256 s[20:27], s[0:1], 0x70
	s_delay_alu instid0(VALU_DEP_1) | instskip(SKIP_1) | instid1(VALU_DEP_1)
	v_lshlrev_b64 v[6:7], 2, v[8:9]
	s_waitcnt lgkmcnt(0)
	v_add_co_u32 v0, vcc_lo, s6, v6
	s_delay_alu instid0(VALU_DEP_2)
	v_add_co_ci_u32_e32 v1, vcc_lo, s7, v7, vcc_lo
	v_mul_lo_u32 v4, v8, s11
	v_mul_lo_u32 v5, v9, s10
	;; [unrolled: 1-line block ×3, first 2 shown]
	global_load_b32 v26, v[0:1], off
	s_clause 0x1
	s_load_b128 s[28:31], s[0:1], 0x0
	s_load_b32 s33, s[0:1], 0x10
	v_mad_u64_u32 v[0:1], null, v8, s10, 0
	v_mul_lo_u32 v12, v9, s14
	v_mad_u64_u32 v[2:3], null, v8, s14, 0
	v_mul_lo_u32 v13, v8, s19
	v_mul_lo_u32 v15, v9, s18
	v_mad_u64_u32 v[9:10], null, v8, s18, 0
	v_add3_u32 v1, v1, v4, v5
	v_add3_u32 v3, v3, v11, v12
	s_delay_alu instid0(VALU_DEP_2) | instskip(NEXT) | instid1(VALU_DEP_4)
	v_lshlrev_b64 v[4:5], 2, v[0:1]
	v_add3_u32 v10, v10, v13, v15
	s_delay_alu instid0(VALU_DEP_3)
	v_lshlrev_b64 v[12:13], 2, v[2:3]
	s_waitcnt lgkmcnt(0)
	v_mul_lo_u32 v14, v8, s30
	s_cmpk_eq_i32 s28, 0xe9
	v_lshlrev_b64 v[9:10], 2, v[9:10]
	v_add_co_u32 v0, vcc_lo, s8, v4
	v_add_co_ci_u32_e32 v1, vcc_lo, s9, v5, vcc_lo
	v_add_co_u32 v2, vcc_lo, s12, v12
	v_ashrrev_i32_e32 v15, 31, v14
	v_add_co_ci_u32_e32 v3, vcc_lo, s13, v13, vcc_lo
	v_add_co_u32 v24, vcc_lo, s16, v9
	s_delay_alu instid0(VALU_DEP_3) | instskip(SKIP_1) | instid1(VALU_DEP_2)
	v_lshlrev_b64 v[14:15], 2, v[14:15]
	v_add_co_ci_u32_e32 v29, vcc_lo, s17, v10, vcc_lo
	v_add_co_u32 v27, vcc_lo, s20, v14
	s_delay_alu instid0(VALU_DEP_3)
	v_add_co_ci_u32_e32 v28, vcc_lo, s21, v15, vcc_lo
	s_waitcnt vmcnt(0)
	v_cmp_lt_i32_e32 vcc_lo, 0, v26
	v_cmp_gt_i32_e64 s2, 1, v26
	s_cbranch_scc1 .LBB6_12
; %bb.2:
	v_mov_b32_e32 v10, 0
	s_and_saveexec_b32 s14, vcc_lo
	s_cbranch_execz .LBB6_14
; %bb.3:
	v_add_co_u32 v9, vcc_lo, v24, -4
	v_add_co_ci_u32_e32 v25, vcc_lo, -1, v29, vcc_lo
	v_mov_b32_e32 v10, 0
	s_mov_b32 s7, 0
	s_mov_b32 s15, 0
	;; [unrolled: 1-line block ×3, first 2 shown]
	s_branch .LBB6_5
.LBB6_4:                                ;   in Loop: Header=BB6_5 Depth=1
	s_or_b32 exec_lo, exec_lo, s10
	s_add_i32 s6, s6, 1
	s_delay_alu instid0(SALU_CYCLE_1) | instskip(SKIP_1) | instid1(SALU_CYCLE_1)
	v_cmp_eq_u32_e32 vcc_lo, s6, v26
	s_or_b32 s15, vcc_lo, s15
	s_and_not1_b32 exec_lo, exec_lo, s15
	s_cbranch_execz .LBB6_13
.LBB6_5:                                ; =>This Loop Header: Depth=1
                                        ;     Child Loop BB6_10 Depth 2
	s_cmp_eq_u32 s6, 0
	s_cbranch_scc1 .LBB6_7
; %bb.6:                                ;   in Loop: Header=BB6_5 Depth=1
	s_lshl_b64 s[10:11], s[6:7], 2
	s_delay_alu instid0(SALU_CYCLE_1)
	v_add_co_u32 v14, vcc_lo, v9, s10
	v_add_co_ci_u32_e32 v15, vcc_lo, s11, v25, vcc_lo
	s_mov_b64 s[10:11], s[6:7]
	global_load_b32 v16, v[14:15], off
	s_branch .LBB6_8
.LBB6_7:                                ;   in Loop: Header=BB6_5 Depth=1
	v_mov_b32_e32 v16, 0
	s_mov_b64 s[10:11], 0
.LBB6_8:                                ;   in Loop: Header=BB6_5 Depth=1
	s_delay_alu instid0(SALU_CYCLE_1) | instskip(NEXT) | instid1(SALU_CYCLE_1)
	s_lshl_b64 s[10:11], s[10:11], 2
	v_add_co_u32 v14, vcc_lo, v27, s10
	v_add_co_ci_u32_e32 v15, vcc_lo, s11, v28, vcc_lo
	s_mov_b32 s10, exec_lo
	global_load_b32 v11, v[14:15], off
	s_waitcnt vmcnt(0)
	v_cmpx_lt_i32_e32 0, v11
	s_cbranch_execz .LBB6_4
; %bb.9:                                ;   in Loop: Header=BB6_5 Depth=1
	v_ashrrev_i32_e32 v17, 31, v16
	v_ashrrev_i32_e32 v11, 31, v10
	v_dual_mov_b32 v21, v3 :: v_dual_mov_b32 v20, v2
	v_dual_mov_b32 v23, v1 :: v_dual_mov_b32 v22, v0
	s_delay_alu instid0(VALU_DEP_4) | instskip(NEXT) | instid1(VALU_DEP_4)
	v_lshlrev_b64 v[16:17], 2, v[16:17]
	v_lshlrev_b64 v[18:19], 2, v[10:11]
	s_mov_b32 s11, 0
	s_mov_b32 s16, 0
	s_set_inst_prefetch_distance 0x1
	.p2align	6
.LBB6_10:                               ;   Parent Loop BB6_5 Depth=1
                                        ; =>  This Inner Loop Header: Depth=2
	s_delay_alu instid0(VALU_DEP_2)
	v_add_co_u32 v30, vcc_lo, v20, v16
	v_add_co_ci_u32_e32 v31, vcc_lo, v21, v17, vcc_lo
	s_add_i32 s16, s16, 1
	global_load_b32 v11, v[30:31], off
	v_add_co_u32 v30, vcc_lo, v20, v18
	v_add_co_ci_u32_e32 v31, vcc_lo, v21, v19, vcc_lo
	v_add_co_u32 v32, vcc_lo, v22, v16
	v_add_co_ci_u32_e32 v33, vcc_lo, v23, v17, vcc_lo
	global_load_b32 v32, v[32:33], off
	s_waitcnt vmcnt(1)
	global_store_b32 v[30:31], v11, off
	global_load_b32 v11, v[14:15], off
	v_add_co_u32 v30, vcc_lo, v22, v18
	v_add_co_ci_u32_e32 v31, vcc_lo, v23, v19, vcc_lo
	v_add_co_u32 v22, vcc_lo, v22, 4
	v_add_co_ci_u32_e32 v23, vcc_lo, 0, v23, vcc_lo
	;; [unrolled: 2-line block ×3, first 2 shown]
	s_waitcnt vmcnt(1)
	global_store_b32 v[30:31], v32, off
	s_waitcnt vmcnt(0)
	v_cmp_ge_i32_e64 s3, s16, v11
	v_add_nc_u32_e32 v11, s16, v10
	s_delay_alu instid0(VALU_DEP_2) | instskip(NEXT) | instid1(SALU_CYCLE_1)
	s_or_b32 s11, s3, s11
	s_and_not1_b32 exec_lo, exec_lo, s11
	s_cbranch_execnz .LBB6_10
; %bb.11:                               ;   in Loop: Header=BB6_5 Depth=1
	s_set_inst_prefetch_distance 0x2
	s_or_b32 exec_lo, exec_lo, s11
	v_mov_b32_e32 v10, v11
	s_branch .LBB6_4
.LBB6_12:
                                        ; implicit-def: $vgpr10
	s_branch .LBB6_15
.LBB6_13:
	s_or_b32 exec_lo, exec_lo, s15
.LBB6_14:
	s_delay_alu instid0(SALU_CYCLE_1)
	s_or_b32 exec_lo, exec_lo, s14
	s_cbranch_execnz .LBB6_53
.LBB6_15:
	v_add_co_u32 v9, vcc_lo, s22, v6
	v_add_co_ci_u32_e32 v10, vcc_lo, s23, v7, vcc_lo
	s_load_b128 s[16:19], s[0:1], 0x90
	v_lshlrev_b32_e32 v14, 1, v8
                                        ; implicit-def: $sgpr3
                                        ; implicit-def: $sgpr6_sgpr7
	global_load_b32 v25, v[9:10], off
	v_mul_lo_u32 v10, v14, s30
	s_delay_alu instid0(VALU_DEP_1) | instskip(SKIP_1) | instid1(SALU_CYCLE_1)
	v_ashrrev_i32_e32 v11, 31, v10
	s_and_saveexec_b32 s10, s2
	s_xor_b32 s2, exec_lo, s10
; %bb.16:
	s_ashr_i32 s7, s30, 31
	s_mov_b32 s6, s30
	s_mov_b32 s3, 0
                                        ; implicit-def: $vgpr26
                                        ; implicit-def: $vgpr27
                                        ; implicit-def: $vgpr28
                                        ; implicit-def: $vgpr24
                                        ; implicit-def: $vgpr29
                                        ; implicit-def: $vgpr12_vgpr13
; %bb.17:
	s_or_saveexec_b32 s20, s2
	v_lshlrev_b64 v[15:16], 2, v[10:11]
	v_mov_b32_e32 v11, s7
	v_dual_mov_b32 v9, s3 :: v_dual_mov_b32 v10, s6
	s_xor_b32 exec_lo, exec_lo, s20
	s_cbranch_execz .LBB6_28
; %bb.18:
	v_add_co_u32 v30, vcc_lo, v24, -4
	v_add_co_ci_u32_e32 v29, vcc_lo, -1, v29, vcc_lo
	v_add_co_u32 v31, vcc_lo, s8, v4
	v_add_co_ci_u32_e32 v32, vcc_lo, s9, v5, vcc_lo
	v_add_co_u32 v33, vcc_lo, s12, v12
	v_add_co_ci_u32_e32 v13, vcc_lo, s13, v13, vcc_lo
	s_waitcnt lgkmcnt(0)
	v_add_co_u32 v34, vcc_lo, s16, v15
	v_add_co_ci_u32_e32 v35, vcc_lo, s17, v16, vcc_lo
	v_add_co_u32 v36, vcc_lo, s18, v15
	v_add_co_ci_u32_e32 v37, vcc_lo, s19, v16, vcc_lo
	v_mov_b32_e32 v9, 0
	s_ashr_i32 s7, s30, 31
	s_mov_b32 s6, s30
	s_mov_b32 s15, 0
	s_lshl_b64 s[10:11], s[6:7], 2
	s_mov_b32 s21, 0
	s_mov_b32 s14, s15
	s_branch .LBB6_20
.LBB6_19:                               ;   in Loop: Header=BB6_20 Depth=1
	s_or_b32 exec_lo, exec_lo, s3
	s_add_i32 s14, s14, 1
	s_delay_alu instid0(SALU_CYCLE_1) | instskip(SKIP_1) | instid1(SALU_CYCLE_1)
	v_cmp_eq_u32_e32 vcc_lo, s14, v26
	s_or_b32 s21, vcc_lo, s21
	s_and_not1_b32 exec_lo, exec_lo, s21
	s_cbranch_execz .LBB6_27
.LBB6_20:                               ; =>This Loop Header: Depth=1
                                        ;     Child Loop BB6_25 Depth 2
	s_cmp_eq_u32 s14, 0
	s_cbranch_scc1 .LBB6_22
; %bb.21:                               ;   in Loop: Header=BB6_20 Depth=1
	s_lshl_b64 s[2:3], s[14:15], 2
	s_delay_alu instid0(SALU_CYCLE_1)
	v_add_co_u32 v10, vcc_lo, v30, s2
	v_add_co_ci_u32_e32 v11, vcc_lo, s3, v29, vcc_lo
	s_mov_b64 s[2:3], s[14:15]
	global_load_b32 v17, v[10:11], off
	s_branch .LBB6_23
.LBB6_22:                               ;   in Loop: Header=BB6_20 Depth=1
	v_mov_b32_e32 v17, 0
	s_mov_b64 s[2:3], 0
.LBB6_23:                               ;   in Loop: Header=BB6_20 Depth=1
	s_delay_alu instid0(SALU_CYCLE_1) | instskip(NEXT) | instid1(SALU_CYCLE_1)
	s_lshl_b64 s[2:3], s[2:3], 2
	v_add_co_u32 v11, vcc_lo, v27, s2
	v_add_co_ci_u32_e32 v12, vcc_lo, s3, v28, vcc_lo
	s_mov_b32 s3, exec_lo
	global_load_b32 v10, v[11:12], off
	s_waitcnt vmcnt(0)
	v_cmpx_lt_i32_e32 0, v10
	s_cbranch_execz .LBB6_19
; %bb.24:                               ;   in Loop: Header=BB6_20 Depth=1
	v_ashrrev_i32_e32 v18, 31, v17
	v_ashrrev_i32_e32 v10, 31, v9
	s_mov_b32 s22, 0
	s_mov_b32 s23, 0
	s_delay_alu instid0(VALU_DEP_2) | instskip(NEXT) | instid1(VALU_DEP_2)
	v_lshlrev_b64 v[19:20], 2, v[17:18]
	v_lshlrev_b64 v[23:24], 2, v[9:10]
	s_delay_alu instid0(VALU_DEP_2) | instskip(NEXT) | instid1(VALU_DEP_3)
	v_add_co_u32 v17, vcc_lo, v31, v19
	v_add_co_ci_u32_e32 v18, vcc_lo, v32, v20, vcc_lo
	v_add_co_u32 v19, vcc_lo, v33, v19
	v_add_co_ci_u32_e32 v20, vcc_lo, v13, v20, vcc_lo
	;; [unrolled: 2-line block ×4, first 2 shown]
	s_set_inst_prefetch_distance 0x1
	.p2align	6
.LBB6_25:                               ;   Parent Loop BB6_20 Depth=1
                                        ; =>  This Inner Loop Header: Depth=2
	global_load_b32 v10, v[19:20], off
	v_add_co_u32 v38, vcc_lo, v21, s10
	v_add_co_ci_u32_e32 v39, vcc_lo, s11, v22, vcc_lo
	s_add_i32 s23, s23, 1
	s_waitcnt vmcnt(0)
	global_store_b32 v[23:24], v10, off
	global_load_b32 v40, v[11:12], off
	global_load_b32 v41, v[17:18], off
	v_add_co_u32 v17, vcc_lo, v17, 4
	v_add_co_ci_u32_e32 v18, vcc_lo, 0, v18, vcc_lo
	v_add_co_u32 v19, vcc_lo, v19, 4
	v_add_co_ci_u32_e32 v20, vcc_lo, 0, v20, vcc_lo
	v_add_co_u32 v23, s2, v23, 4
	v_add_nc_u32_e32 v10, s23, v9
	v_add_co_ci_u32_e64 v24, s2, 0, v24, s2
	s_waitcnt vmcnt(0)
	global_store_b32 v[21:22], v41, off
	v_add_co_u32 v21, vcc_lo, v21, 4
	v_add_co_ci_u32_e32 v22, vcc_lo, 0, v22, vcc_lo
	v_cmp_ge_i32_e32 vcc_lo, s23, v40
	global_store_b32 v[38:39], v41, off
	s_or_b32 s22, vcc_lo, s22
	s_delay_alu instid0(SALU_CYCLE_1)
	s_and_not1_b32 exec_lo, exec_lo, s22
	s_cbranch_execnz .LBB6_25
; %bb.26:                               ;   in Loop: Header=BB6_20 Depth=1
	s_set_inst_prefetch_distance 0x2
	s_or_b32 exec_lo, exec_lo, s22
	v_mov_b32_e32 v9, v10
	s_branch .LBB6_19
.LBB6_27:
	s_or_b32 exec_lo, exec_lo, s21
	v_dual_mov_b32 v11, s7 :: v_dual_mov_b32 v10, s6
.LBB6_28:
	s_or_b32 exec_lo, exec_lo, s20
; %bb.29:
	s_waitcnt lgkmcnt(0)
	v_add_co_u32 v24, vcc_lo, s16, v15
	s_delay_alu instid0(VALU_DEP_2) | instskip(SKIP_3) | instid1(VALU_DEP_4)
	v_lshlrev_b64 v[10:11], 2, v[10:11]
	v_add_co_ci_u32_e32 v26, vcc_lo, s17, v16, vcc_lo
	v_add_co_u32 v27, vcc_lo, s18, v15
	v_add_co_ci_u32_e32 v28, vcc_lo, s19, v16, vcc_lo
	v_add_co_u32 v12, vcc_lo, v24, v10
	s_delay_alu instid0(VALU_DEP_4)
	v_add_co_ci_u32_e32 v13, vcc_lo, v26, v11, vcc_lo
	s_mov_b32 s6, 1
	s_mov_b32 s3, exec_lo
	v_cmpx_lt_i32_e32 1, v9
	s_cbranch_execz .LBB6_37
; %bb.30:
	v_add_co_u32 v20, vcc_lo, v27, v10
	v_add_co_ci_u32_e32 v21, vcc_lo, v28, v11, vcc_lo
	v_add_co_u32 v10, vcc_lo, v10, v15
	v_add_co_ci_u32_e32 v11, vcc_lo, v11, v16, vcc_lo
	v_add_co_u32 v22, vcc_lo, v12, -4
	v_add_co_ci_u32_e32 v23, vcc_lo, -1, v13, vcc_lo
	s_delay_alu instid0(VALU_DEP_4) | instskip(NEXT) | instid1(VALU_DEP_4)
	v_add_co_u32 v10, vcc_lo, v10, s16
	v_add_co_ci_u32_e32 v11, vcc_lo, s17, v11, vcc_lo
	v_add_co_u32 v29, vcc_lo, v20, -4
	v_add_co_ci_u32_e32 v30, vcc_lo, -1, v21, vcc_lo
	s_delay_alu instid0(VALU_DEP_4) | instskip(NEXT) | instid1(VALU_DEP_4)
	v_add_co_u32 v10, vcc_lo, v10, 4
	v_add_co_ci_u32_e32 v11, vcc_lo, 0, v11, vcc_lo
	s_cmp_lg_u64 s[18:19], 0
	s_mov_b32 s15, 0
	s_cselect_b32 s14, -1, 0
	s_branch .LBB6_32
.LBB6_31:                               ;   in Loop: Header=BB6_32 Depth=1
	s_or_b32 exec_lo, exec_lo, s2
	s_add_i32 s6, s6, 1
	v_add_co_u32 v10, s2, v10, 4
	v_cmp_eq_u32_e32 vcc_lo, s6, v9
	v_add_co_ci_u32_e64 v11, s2, 0, v11, s2
	s_or_b32 s15, vcc_lo, s15
	s_delay_alu instid0(SALU_CYCLE_1)
	s_and_not1_b32 exec_lo, exec_lo, s15
	s_cbranch_execz .LBB6_37
.LBB6_32:                               ; =>This Loop Header: Depth=1
                                        ;     Child Loop BB6_33 Depth 2
	s_ashr_i32 s7, s6, 31
	v_mov_b32_e32 v19, v11
	s_lshl_b64 s[10:11], s[6:7], 2
	s_add_i32 s7, s6, -1
	v_add_co_u32 v15, vcc_lo, v22, s10
	v_add_co_ci_u32_e32 v16, vcc_lo, s11, v23, vcc_lo
	v_dual_mov_b32 v17, s7 :: v_dual_mov_b32 v18, v10
	s_mov_b32 s16, 0
	global_load_b32 v31, v[15:16], off
	s_mov_b32 s17, s6
	s_waitcnt vmcnt(0)
	v_mov_b32_e32 v32, v31
.LBB6_33:                               ;   Parent Loop BB6_32 Depth=1
                                        ; =>  This Inner Loop Header: Depth=2
	global_load_b32 v33, v[18:19], off
	v_add_co_u32 v18, s2, v18, 4
	s_delay_alu instid0(VALU_DEP_1)
	v_add_co_ci_u32_e64 v19, s2, 0, v19, s2
	s_waitcnt vmcnt(0)
	v_cmp_lt_f32_e32 vcc_lo, v33, v32
	v_cndmask_b32_e64 v17, v17, s17, vcc_lo
	s_add_i32 s17, s17, 1
	v_cndmask_b32_e32 v32, v32, v33, vcc_lo
	v_cmp_ge_i32_e32 vcc_lo, s17, v9
	s_or_b32 s16, vcc_lo, s16
	s_delay_alu instid0(SALU_CYCLE_1)
	s_and_not1_b32 exec_lo, exec_lo, s16
	s_cbranch_execnz .LBB6_33
; %bb.34:                               ;   in Loop: Header=BB6_32 Depth=1
	s_or_b32 exec_lo, exec_lo, s16
	s_delay_alu instid0(SALU_CYCLE_1)
	s_mov_b32 s2, exec_lo
	v_cmpx_ne_u32_e64 s7, v17
	s_cbranch_execz .LBB6_31
; %bb.35:                               ;   in Loop: Header=BB6_32 Depth=1
	v_ashrrev_i32_e32 v18, 31, v17
	s_delay_alu instid0(VALU_DEP_1) | instskip(NEXT) | instid1(VALU_DEP_1)
	v_lshlrev_b64 v[17:18], 2, v[17:18]
	v_add_co_u32 v33, vcc_lo, v12, v17
	s_delay_alu instid0(VALU_DEP_2)
	v_add_co_ci_u32_e32 v34, vcc_lo, v13, v18, vcc_lo
	s_and_not1_b32 vcc_lo, exec_lo, s14
	s_clause 0x1
	global_store_b32 v[33:34], v31, off
	global_store_b32 v[15:16], v32, off
	s_cbranch_vccnz .LBB6_31
; %bb.36:                               ;   in Loop: Header=BB6_32 Depth=1
	v_add_co_u32 v15, vcc_lo, v29, s10
	v_add_co_ci_u32_e32 v16, vcc_lo, s11, v30, vcc_lo
	v_add_co_u32 v17, vcc_lo, v20, v17
	v_add_co_ci_u32_e32 v18, vcc_lo, v21, v18, vcc_lo
	s_clause 0x1
	global_load_b32 v19, v[15:16], off
	global_load_b32 v31, v[17:18], off
	s_waitcnt vmcnt(1)
	global_store_b32 v[17:18], v19, off
	s_waitcnt vmcnt(0)
	global_store_b32 v[15:16], v31, off
	s_branch .LBB6_31
.LBB6_37:
	s_or_b32 exec_lo, exec_lo, s3
	v_mov_b32_e32 v10, 0
	s_mov_b32 s3, 0
	s_mov_b32 s10, exec_lo
	v_cmpx_lt_i32_e32 0, v9
	s_cbranch_execz .LBB6_52
; %bb.38:
	s_load_b128 s[16:19], s[0:1], 0x18
	v_ashrrev_i32_e32 v15, 31, v14
	v_dual_mov_b32 v10, 0 :: v_dual_add_nc_u32 v29, -1, v9
	s_mov_b32 s14, 0
	s_delay_alu instid0(VALU_DEP_2)
	v_lshlrev_b64 v[14:15], 2, v[14:15]
	s_waitcnt lgkmcnt(0)
	s_ashr_i32 s1, s18, 31
	s_mov_b32 s0, s18
	v_mad_i64_i32 v[16:17], null, v8, s19, 0
	s_lshl_b64 s[0:1], s[0:1], 2
	s_delay_alu instid0(SALU_CYCLE_1) | instskip(SKIP_4) | instid1(VALU_DEP_2)
	s_add_u32 s0, s16, s0
	s_addc_u32 s2, s17, s1
	s_add_i32 s1, s30, -1
	s_cmp_gt_i32 s30, 1
	v_mul_lo_u32 v18, v8, s1
	v_lshlrev_b64 v[16:17], 2, v[16:17]
	v_add_co_u32 v8, vcc_lo, s26, v14
	v_add_co_ci_u32_e32 v30, vcc_lo, s27, v15, vcc_lo
	s_cselect_b32 s11, -1, 0
	s_delay_alu instid0(VALU_DEP_3) | instskip(SKIP_2) | instid1(VALU_DEP_3)
	v_add_co_u32 v14, vcc_lo, s0, v16
	v_ashrrev_i32_e32 v19, 31, v18
	v_add_co_ci_u32_e32 v15, vcc_lo, s2, v17, vcc_lo
	v_add_co_u32 v16, vcc_lo, v14, 4
	s_delay_alu instid0(VALU_DEP_3) | instskip(NEXT) | instid1(VALU_DEP_3)
	v_lshlrev_b64 v[18:19], 2, v[18:19]
	v_add_co_ci_u32_e32 v17, vcc_lo, 0, v15, vcc_lo
	s_mov_b32 s2, s3
	s_delay_alu instid0(VALU_DEP_2) | instskip(NEXT) | instid1(VALU_DEP_3)
	v_add_co_u32 v18, vcc_lo, s24, v18
	v_add_co_ci_u32_e32 v19, vcc_lo, s25, v19, vcc_lo
	s_branch .LBB6_41
.LBB6_39:                               ;   in Loop: Header=BB6_41 Depth=1
	s_or_b32 exec_lo, exec_lo, s0
.LBB6_40:                               ;   in Loop: Header=BB6_41 Depth=1
	s_delay_alu instid0(SALU_CYCLE_1) | instskip(SKIP_1) | instid1(SALU_CYCLE_1)
	s_or_b32 exec_lo, exec_lo, s15
	s_add_i32 s2, s2, 1
	v_cmp_eq_u32_e32 vcc_lo, s2, v9
	s_or_b32 s14, vcc_lo, s14
	s_delay_alu instid0(SALU_CYCLE_1)
	s_and_not1_b32 exec_lo, exec_lo, s14
	s_cbranch_execz .LBB6_51
.LBB6_41:                               ; =>This Loop Header: Depth=1
                                        ;     Child Loop BB6_43 Depth 2
                                        ;     Child Loop BB6_48 Depth 2
	s_lshl_b64 s[6:7], s[2:3], 2
	v_dual_mov_b32 v23, v13 :: v_dual_mov_b32 v22, v12
	v_add_co_u32 v20, vcc_lo, v24, s6
	v_add_co_ci_u32_e32 v21, vcc_lo, s7, v26, vcc_lo
	s_mov_b32 s15, 0
	s_mov_b32 s19, 0
                                        ; implicit-def: $sgpr16
                                        ; implicit-def: $sgpr18
                                        ; implicit-def: $sgpr17
	global_load_b32 v31, v[20:21], off
	s_set_inst_prefetch_distance 0x1
	s_branch .LBB6_43
	.p2align	6
.LBB6_42:                               ;   in Loop: Header=BB6_43 Depth=2
	s_or_b32 exec_lo, exec_lo, s21
	s_delay_alu instid0(SALU_CYCLE_1)
	s_and_b32 s0, exec_lo, s18
	v_mov_b32_e32 v32, s19
	s_or_b32 s15, s0, s15
	s_and_not1_b32 s0, s16, exec_lo
	s_and_b32 s16, s17, exec_lo
	s_mov_b32 s19, s20
	s_or_b32 s16, s0, s16
	s_and_not1_b32 exec_lo, exec_lo, s15
	s_cbranch_execz .LBB6_45
.LBB6_43:                               ;   Parent Loop BB6_41 Depth=1
                                        ; =>  This Inner Loop Header: Depth=2
	global_load_b32 v11, v[22:23], off
	v_dual_mov_b32 v20, v22 :: v_dual_mov_b32 v21, v23
	s_or_b32 s17, s17, exec_lo
	s_or_b32 s18, s18, exec_lo
	s_mov_b32 s21, exec_lo
                                        ; implicit-def: $sgpr20
                                        ; implicit-def: $vgpr22_vgpr23
	s_waitcnt vmcnt(0)
	v_cmpx_neq_f32_e32 v31, v11
	s_cbranch_execz .LBB6_42
; %bb.44:                               ;   in Loop: Header=BB6_43 Depth=2
	s_add_i32 s20, s19, 1
	v_add_co_u32 v22, s0, v20, 4
	v_cmp_eq_u32_e32 vcc_lo, s20, v9
	v_add_co_ci_u32_e64 v23, s0, 0, v21, s0
	s_and_not1_b32 s0, s18, exec_lo
	s_and_not1_b32 s17, s17, exec_lo
	s_and_b32 s18, vcc_lo, exec_lo
	s_delay_alu instid0(SALU_CYCLE_1)
	s_or_b32 s18, s0, s18
	s_branch .LBB6_42
.LBB6_45:                               ;   in Loop: Header=BB6_41 Depth=1
	s_set_inst_prefetch_distance 0x2
	s_or_b32 exec_lo, exec_lo, s15
	s_and_saveexec_b32 s0, s16
	s_delay_alu instid0(SALU_CYCLE_1)
	s_xor_b32 s15, exec_lo, s0
	s_cbranch_execz .LBB6_40
; %bb.46:                               ;   in Loop: Header=BB6_41 Depth=1
	v_cmp_eq_u32_e32 vcc_lo, v32, v29
	v_dual_cndmask_b32 v21, v21, v30 :: v_dual_cndmask_b32 v20, v20, v8
	s_and_not1_b32 vcc_lo, exec_lo, s11
	global_load_b32 v20, v[20:21], off offset:4
	global_load_b32 v21, v[14:15], off
	s_waitcnt vmcnt(1)
	v_sub_f32_e32 v11, v20, v11
	s_delay_alu instid0(VALU_DEP_1) | instskip(SKIP_1) | instid1(VALU_DEP_1)
	v_fma_f32 v32, 0.5, v11, v31
	s_waitcnt vmcnt(0)
	v_sub_f32_e32 v22, v21, v32
	s_delay_alu instid0(VALU_DEP_1) | instskip(NEXT) | instid1(VALU_DEP_1)
	v_cmp_le_f32_e64 s0, v22, v25
	v_cndmask_b32_e64 v11, 0, 1, s0
	s_cbranch_vccnz .LBB6_49
; %bb.47:                               ;   in Loop: Header=BB6_41 Depth=1
	v_cmp_gt_f32_e64 s16, v22, -v25
	v_dual_mov_b32 v21, v17 :: v_dual_mov_b32 v20, v16
	s_delay_alu instid0(VALU_DEP_2)
	s_and_b32 s0, s0, s16
	s_mov_b32 s16, s1
	v_cndmask_b32_e64 v33, v22, -v25, s0
	v_dual_mov_b32 v23, v19 :: v_dual_mov_b32 v22, v18
	s_set_inst_prefetch_distance 0x1
	.p2align	6
.LBB6_48:                               ;   Parent Loop BB6_41 Depth=1
                                        ; =>  This Inner Loop Header: Depth=2
	global_load_b32 v34, v[22:23], off
	global_load_b32 v35, v[20:21], off
	s_add_i32 s16, s16, -1
	s_waitcnt vmcnt(1)
	v_div_scale_f32 v36, null, v33, v33, v34
	v_div_scale_f32 v39, vcc_lo, v34, v33, v34
	s_waitcnt vmcnt(0)
	v_sub_f32_e32 v35, v35, v32
	s_delay_alu instid0(VALU_DEP_3) | instskip(SKIP_2) | instid1(VALU_DEP_1)
	v_rcp_f32_e32 v37, v36
	s_waitcnt_depctr 0xfff
	v_fma_f32 v38, -v36, v37, 1.0
	v_fmac_f32_e32 v37, v38, v37
	s_delay_alu instid0(VALU_DEP_1) | instskip(NEXT) | instid1(VALU_DEP_1)
	v_mul_f32_e32 v38, v39, v37
	v_fma_f32 v40, -v36, v38, v39
	s_delay_alu instid0(VALU_DEP_1) | instskip(NEXT) | instid1(VALU_DEP_1)
	v_fmac_f32_e32 v38, v40, v37
	v_fma_f32 v36, -v36, v38, v39
	s_delay_alu instid0(VALU_DEP_1) | instskip(SKIP_2) | instid1(VALU_DEP_3)
	v_div_fmas_f32 v36, v36, v37, v38
	v_add_co_u32 v22, vcc_lo, v22, 4
	v_add_co_ci_u32_e32 v23, vcc_lo, 0, v23, vcc_lo
	v_div_fixup_f32 v33, v36, v33, v34
	v_add_co_u32 v20, vcc_lo, v20, 4
	v_add_co_ci_u32_e32 v21, vcc_lo, 0, v21, vcc_lo
	s_delay_alu instid0(VALU_DEP_3) | instskip(NEXT) | instid1(VALU_DEP_1)
	v_sub_f32_e32 v33, v35, v33
	v_cmp_le_f32_e64 s0, v33, v25
	v_cmp_gt_f32_e64 s17, v33, -v25
	s_delay_alu instid0(VALU_DEP_2) | instskip(NEXT) | instid1(VALU_DEP_2)
	v_add_co_ci_u32_e64 v11, vcc_lo, 0, v11, s0
	s_and_b32 s0, s0, s17
	s_cmp_lg_u32 s16, 0
	v_cndmask_b32_e64 v33, v33, -v25, s0
	s_cbranch_scc1 .LBB6_48
.LBB6_49:                               ;   in Loop: Header=BB6_41 Depth=1
	s_set_inst_prefetch_distance 0x2
	s_delay_alu instid0(VALU_DEP_1) | instskip(SKIP_1) | instid1(VALU_DEP_1)
	v_cmp_le_i32_e32 vcc_lo, s31, v11
	v_cmp_ge_i32_e64 s0, s33, v11
	s_and_b32 s16, vcc_lo, s0
	s_delay_alu instid0(SALU_CYCLE_1)
	s_and_saveexec_b32 s0, s16
	s_cbranch_execz .LBB6_39
; %bb.50:                               ;   in Loop: Header=BB6_41 Depth=1
	v_add_co_u32 v20, vcc_lo, v27, s6
	v_add_co_ci_u32_e32 v21, vcc_lo, s7, v28, vcc_lo
	v_ashrrev_i32_e32 v11, 31, v10
	global_load_b32 v32, v[20:21], off
	v_lshlrev_b64 v[20:21], 2, v[10:11]
	v_add_nc_u32_e32 v10, 1, v10
	s_delay_alu instid0(VALU_DEP_2) | instskip(NEXT) | instid1(VALU_DEP_3)
	v_add_co_u32 v22, vcc_lo, v0, v20
	v_add_co_ci_u32_e32 v23, vcc_lo, v1, v21, vcc_lo
	v_add_co_u32 v20, vcc_lo, v2, v20
	v_add_co_ci_u32_e32 v21, vcc_lo, v3, v21, vcc_lo
	global_store_b32 v[22:23], v31, off
	s_waitcnt vmcnt(0)
	global_store_b32 v[20:21], v32, off
	s_branch .LBB6_39
.LBB6_51:
	s_or_b32 exec_lo, exec_lo, s14
.LBB6_52:
	s_delay_alu instid0(SALU_CYCLE_1)
	s_or_b32 exec_lo, exec_lo, s10
.LBB6_53:
	v_add_co_u32 v6, vcc_lo, s4, v6
	v_add_co_ci_u32_e32 v7, vcc_lo, s5, v7, vcc_lo
	v_cmp_lt_i32_e32 vcc_lo, 1, v10
	s_cmpk_eq_i32 s29, 0xf2
	s_mov_b32 s2, 1
	s_cselect_b32 s0, -1, 0
	global_store_b32 v[6:7], v10, off
	s_and_b32 s0, s0, vcc_lo
	s_delay_alu instid0(SALU_CYCLE_1)
	s_and_b32 exec_lo, exec_lo, s0
	s_cbranch_execz .LBB6_61
; %bb.54:
	v_add_co_u32 v13, vcc_lo, v0, -4
	v_add_co_ci_u32_e32 v14, vcc_lo, -1, v1, vcc_lo
	v_add_co_u32 v4, vcc_lo, v4, s8
	v_add_co_ci_u32_e32 v5, vcc_lo, s9, v5, vcc_lo
	v_add_co_u32 v15, vcc_lo, v2, -4
	v_add_co_ci_u32_e32 v16, vcc_lo, -1, v3, vcc_lo
	s_delay_alu instid0(VALU_DEP_4) | instskip(NEXT) | instid1(VALU_DEP_4)
	v_add_co_u32 v4, vcc_lo, v4, 4
	v_add_co_ci_u32_e32 v5, vcc_lo, 0, v5, vcc_lo
	s_cmp_lg_u64 s[12:13], 0
	s_mov_b32 s6, 0
	s_cselect_b32 s1, -1, 0
	s_branch .LBB6_56
.LBB6_55:                               ;   in Loop: Header=BB6_56 Depth=1
	s_or_b32 exec_lo, exec_lo, s0
	s_add_i32 s2, s2, 1
	v_add_co_u32 v4, s0, v4, 4
	v_cmp_eq_u32_e32 vcc_lo, s2, v10
	v_add_co_ci_u32_e64 v5, s0, 0, v5, s0
	s_or_b32 s6, vcc_lo, s6
	s_delay_alu instid0(SALU_CYCLE_1)
	s_and_not1_b32 exec_lo, exec_lo, s6
	s_cbranch_execz .LBB6_61
.LBB6_56:                               ; =>This Loop Header: Depth=1
                                        ;     Child Loop BB6_57 Depth 2
	s_ashr_i32 s3, s2, 31
	v_mov_b32_e32 v12, v5
	s_lshl_b64 s[4:5], s[2:3], 2
	s_add_i32 s3, s2, -1
	v_add_co_u32 v6, vcc_lo, v13, s4
	v_add_co_ci_u32_e32 v7, vcc_lo, s5, v14, vcc_lo
	v_dual_mov_b32 v8, s3 :: v_dual_mov_b32 v11, v4
	s_mov_b32 s7, 0
	global_load_b32 v17, v[6:7], off
	s_mov_b32 s8, s2
	s_waitcnt vmcnt(0)
	v_mov_b32_e32 v18, v17
.LBB6_57:                               ;   Parent Loop BB6_56 Depth=1
                                        ; =>  This Inner Loop Header: Depth=2
	global_load_b32 v9, v[11:12], off
	v_add_co_u32 v11, s0, v11, 4
	s_delay_alu instid0(VALU_DEP_1)
	v_add_co_ci_u32_e64 v12, s0, 0, v12, s0
	s_waitcnt vmcnt(0)
	v_cmp_lt_f32_e32 vcc_lo, v9, v18
	v_cndmask_b32_e64 v8, v8, s8, vcc_lo
	s_add_i32 s8, s8, 1
	v_cndmask_b32_e32 v18, v18, v9, vcc_lo
	v_cmp_ge_i32_e32 vcc_lo, s8, v10
	s_or_b32 s7, vcc_lo, s7
	s_delay_alu instid0(SALU_CYCLE_1)
	s_and_not1_b32 exec_lo, exec_lo, s7
	s_cbranch_execnz .LBB6_57
; %bb.58:                               ;   in Loop: Header=BB6_56 Depth=1
	s_or_b32 exec_lo, exec_lo, s7
	s_delay_alu instid0(SALU_CYCLE_1)
	s_mov_b32 s0, exec_lo
	v_cmpx_ne_u32_e64 s3, v8
	s_cbranch_execz .LBB6_55
; %bb.59:                               ;   in Loop: Header=BB6_56 Depth=1
	v_ashrrev_i32_e32 v9, 31, v8
	s_delay_alu instid0(VALU_DEP_1) | instskip(NEXT) | instid1(VALU_DEP_1)
	v_lshlrev_b64 v[8:9], 2, v[8:9]
	v_add_co_u32 v11, vcc_lo, v0, v8
	s_delay_alu instid0(VALU_DEP_2)
	v_add_co_ci_u32_e32 v12, vcc_lo, v1, v9, vcc_lo
	s_and_not1_b32 vcc_lo, exec_lo, s1
	s_clause 0x1
	global_store_b32 v[11:12], v17, off
	global_store_b32 v[6:7], v18, off
	s_cbranch_vccnz .LBB6_55
; %bb.60:                               ;   in Loop: Header=BB6_56 Depth=1
	v_add_co_u32 v6, vcc_lo, v15, s4
	v_add_co_ci_u32_e32 v7, vcc_lo, s5, v16, vcc_lo
	v_add_co_u32 v8, vcc_lo, v2, v8
	v_add_co_ci_u32_e32 v9, vcc_lo, v3, v9, vcc_lo
	s_clause 0x1
	global_load_b32 v11, v[6:7], off
	global_load_b32 v12, v[8:9], off
	s_waitcnt vmcnt(1)
	global_store_b32 v[8:9], v11, off
	s_waitcnt vmcnt(0)
	global_store_b32 v[6:7], v12, off
	s_branch .LBB6_55
.LBB6_61:
	s_nop 0
	s_sendmsg sendmsg(MSG_DEALLOC_VGPRS)
	s_endpgm
	.section	.rodata,"a",@progbits
	.p2align	6, 0x0
	.amdhsa_kernel _ZN9rocsolver6v33100L22stebz_synthesis_kernelIfPfEEv15rocblas_erange_15rocblas_eorder_iiiT0_iiPiS6_PT_lS6_lS6_liS6_S8_S8_S8_S8_S6_S7_
		.amdhsa_group_segment_fixed_size 0
		.amdhsa_private_segment_fixed_size 0
		.amdhsa_kernarg_size 424
		.amdhsa_user_sgpr_count 15
		.amdhsa_user_sgpr_dispatch_ptr 0
		.amdhsa_user_sgpr_queue_ptr 0
		.amdhsa_user_sgpr_kernarg_segment_ptr 1
		.amdhsa_user_sgpr_dispatch_id 0
		.amdhsa_user_sgpr_private_segment_size 0
		.amdhsa_wavefront_size32 1
		.amdhsa_uses_dynamic_stack 0
		.amdhsa_enable_private_segment 0
		.amdhsa_system_sgpr_workgroup_id_x 1
		.amdhsa_system_sgpr_workgroup_id_y 0
		.amdhsa_system_sgpr_workgroup_id_z 0
		.amdhsa_system_sgpr_workgroup_info 0
		.amdhsa_system_vgpr_workitem_id 0
		.amdhsa_next_free_vgpr 42
		.amdhsa_next_free_sgpr 34
		.amdhsa_reserve_vcc 1
		.amdhsa_float_round_mode_32 0
		.amdhsa_float_round_mode_16_64 0
		.amdhsa_float_denorm_mode_32 3
		.amdhsa_float_denorm_mode_16_64 3
		.amdhsa_dx10_clamp 1
		.amdhsa_ieee_mode 1
		.amdhsa_fp16_overflow 0
		.amdhsa_workgroup_processor_mode 1
		.amdhsa_memory_ordered 1
		.amdhsa_forward_progress 0
		.amdhsa_shared_vgpr_count 0
		.amdhsa_exception_fp_ieee_invalid_op 0
		.amdhsa_exception_fp_denorm_src 0
		.amdhsa_exception_fp_ieee_div_zero 0
		.amdhsa_exception_fp_ieee_overflow 0
		.amdhsa_exception_fp_ieee_underflow 0
		.amdhsa_exception_fp_ieee_inexact 0
		.amdhsa_exception_int_div_zero 0
	.end_amdhsa_kernel
	.section	.text._ZN9rocsolver6v33100L22stebz_synthesis_kernelIfPfEEv15rocblas_erange_15rocblas_eorder_iiiT0_iiPiS6_PT_lS6_lS6_liS6_S8_S8_S8_S8_S6_S7_,"axG",@progbits,_ZN9rocsolver6v33100L22stebz_synthesis_kernelIfPfEEv15rocblas_erange_15rocblas_eorder_iiiT0_iiPiS6_PT_lS6_lS6_liS6_S8_S8_S8_S8_S6_S7_,comdat
.Lfunc_end6:
	.size	_ZN9rocsolver6v33100L22stebz_synthesis_kernelIfPfEEv15rocblas_erange_15rocblas_eorder_iiiT0_iiPiS6_PT_lS6_lS6_liS6_S8_S8_S8_S8_S6_S7_, .Lfunc_end6-_ZN9rocsolver6v33100L22stebz_synthesis_kernelIfPfEEv15rocblas_erange_15rocblas_eorder_iiiT0_iiPiS6_PT_lS6_lS6_liS6_S8_S8_S8_S8_S6_S7_
                                        ; -- End function
	.section	.AMDGPU.csdata,"",@progbits
; Kernel info:
; codeLenInByte = 3264
; NumSgprs: 36
; NumVgprs: 42
; ScratchSize: 0
; MemoryBound: 0
; FloatMode: 240
; IeeeMode: 1
; LDSByteSize: 0 bytes/workgroup (compile time only)
; SGPRBlocks: 4
; VGPRBlocks: 5
; NumSGPRsForWavesPerEU: 36
; NumVGPRsForWavesPerEU: 42
; Occupancy: 16
; WaveLimiterHint : 1
; COMPUTE_PGM_RSRC2:SCRATCH_EN: 0
; COMPUTE_PGM_RSRC2:USER_SGPR: 15
; COMPUTE_PGM_RSRC2:TRAP_HANDLER: 0
; COMPUTE_PGM_RSRC2:TGID_X_EN: 1
; COMPUTE_PGM_RSRC2:TGID_Y_EN: 0
; COMPUTE_PGM_RSRC2:TGID_Z_EN: 0
; COMPUTE_PGM_RSRC2:TIDIG_COMP_CNT: 0
	.section	.text._ZN9rocsolver6v33100L15bdsvdx_abs_eigsIfEEviPiPT_lS4_,"axG",@progbits,_ZN9rocsolver6v33100L15bdsvdx_abs_eigsIfEEviPiPT_lS4_,comdat
	.globl	_ZN9rocsolver6v33100L15bdsvdx_abs_eigsIfEEviPiPT_lS4_ ; -- Begin function _ZN9rocsolver6v33100L15bdsvdx_abs_eigsIfEEviPiPT_lS4_
	.p2align	8
	.type	_ZN9rocsolver6v33100L15bdsvdx_abs_eigsIfEEviPiPT_lS4_,@function
_ZN9rocsolver6v33100L15bdsvdx_abs_eigsIfEEviPiPT_lS4_: ; @_ZN9rocsolver6v33100L15bdsvdx_abs_eigsIfEEviPiPT_lS4_
; %bb.0:
	s_load_b256 s[4:11], s[0:1], 0x8
	s_mov_b32 s2, s15
	s_ashr_i32 s3, s15, 31
	s_delay_alu instid0(SALU_CYCLE_1)
	s_lshl_b64 s[12:13], s[2:3], 2
	s_waitcnt lgkmcnt(0)
	s_add_u32 s4, s4, s12
	s_addc_u32 s5, s5, s13
	s_load_b32 s12, s[0:1], 0x0
	s_load_b32 s13, s[4:5], 0x0
	;; [unrolled: 1-line block ×3, first 2 shown]
	s_waitcnt lgkmcnt(0)
	s_cmp_le_i32 s13, s12
	s_cbranch_scc1 .LBB7_2
; %bb.1:
	v_dual_mov_b32 v1, 0 :: v_dual_mov_b32 v2, s12
	s_mov_b32 s13, s12
	global_store_b32 v1, v2, s[4:5]
.LBB7_2:
	s_and_b32 s0, 0xffff, s0
	s_delay_alu instid0(SALU_CYCLE_1) | instskip(SKIP_1) | instid1(VALU_DEP_1)
	v_mad_u64_u32 v[1:2], null, s14, s0, v[0:1]
	s_mov_b32 s0, exec_lo
	v_cmpx_gt_i32_e64 s13, v1
	s_cbranch_execz .LBB7_4
; %bb.3:
	s_mul_i32 s0, s2, s9
	s_mul_hi_u32 s1, s2, s8
	s_mul_i32 s3, s3, s8
	s_add_i32 s1, s1, s0
	s_mul_i32 s0, s2, s8
	s_add_i32 s1, s1, s3
	v_ashrrev_i32_e32 v2, 31, v1
	s_lshl_b64 s[0:1], s[0:1], 2
	s_mul_i32 s2, s2, s12
	s_add_u32 s3, s6, s0
	s_addc_u32 s4, s7, s1
	s_lshl_b32 s0, s2, 1
	v_lshlrev_b64 v[0:1], 2, v[1:2]
	s_ashr_i32 s1, s0, 31
	s_delay_alu instid0(SALU_CYCLE_1) | instskip(NEXT) | instid1(SALU_CYCLE_1)
	s_lshl_b64 s[0:1], s[0:1], 2
	s_add_u32 s0, s10, s0
	s_addc_u32 s1, s11, s1
	s_delay_alu instid0(VALU_DEP_1)
	v_add_co_u32 v2, vcc_lo, s0, v0
	v_add_co_ci_u32_e32 v3, vcc_lo, s1, v1, vcc_lo
	v_add_co_u32 v0, vcc_lo, s3, v0
	v_add_co_ci_u32_e32 v1, vcc_lo, s4, v1, vcc_lo
	global_load_b32 v2, v[2:3], off
	s_waitcnt vmcnt(0)
	v_xor_b32_e32 v2, 0x80000000, v2
	global_store_b32 v[0:1], v2, off
.LBB7_4:
	s_nop 0
	s_sendmsg sendmsg(MSG_DEALLOC_VGPRS)
	s_endpgm
	.section	.rodata,"a",@progbits
	.p2align	6, 0x0
	.amdhsa_kernel _ZN9rocsolver6v33100L15bdsvdx_abs_eigsIfEEviPiPT_lS4_
		.amdhsa_group_segment_fixed_size 0
		.amdhsa_private_segment_fixed_size 0
		.amdhsa_kernarg_size 296
		.amdhsa_user_sgpr_count 14
		.amdhsa_user_sgpr_dispatch_ptr 0
		.amdhsa_user_sgpr_queue_ptr 0
		.amdhsa_user_sgpr_kernarg_segment_ptr 1
		.amdhsa_user_sgpr_dispatch_id 0
		.amdhsa_user_sgpr_private_segment_size 0
		.amdhsa_wavefront_size32 1
		.amdhsa_uses_dynamic_stack 0
		.amdhsa_enable_private_segment 0
		.amdhsa_system_sgpr_workgroup_id_x 1
		.amdhsa_system_sgpr_workgroup_id_y 1
		.amdhsa_system_sgpr_workgroup_id_z 0
		.amdhsa_system_sgpr_workgroup_info 0
		.amdhsa_system_vgpr_workitem_id 0
		.amdhsa_next_free_vgpr 4
		.amdhsa_next_free_sgpr 16
		.amdhsa_reserve_vcc 1
		.amdhsa_float_round_mode_32 0
		.amdhsa_float_round_mode_16_64 0
		.amdhsa_float_denorm_mode_32 3
		.amdhsa_float_denorm_mode_16_64 3
		.amdhsa_dx10_clamp 1
		.amdhsa_ieee_mode 1
		.amdhsa_fp16_overflow 0
		.amdhsa_workgroup_processor_mode 1
		.amdhsa_memory_ordered 1
		.amdhsa_forward_progress 0
		.amdhsa_shared_vgpr_count 0
		.amdhsa_exception_fp_ieee_invalid_op 0
		.amdhsa_exception_fp_denorm_src 0
		.amdhsa_exception_fp_ieee_div_zero 0
		.amdhsa_exception_fp_ieee_overflow 0
		.amdhsa_exception_fp_ieee_underflow 0
		.amdhsa_exception_fp_ieee_inexact 0
		.amdhsa_exception_int_div_zero 0
	.end_amdhsa_kernel
	.section	.text._ZN9rocsolver6v33100L15bdsvdx_abs_eigsIfEEviPiPT_lS4_,"axG",@progbits,_ZN9rocsolver6v33100L15bdsvdx_abs_eigsIfEEviPiPT_lS4_,comdat
.Lfunc_end7:
	.size	_ZN9rocsolver6v33100L15bdsvdx_abs_eigsIfEEviPiPT_lS4_, .Lfunc_end7-_ZN9rocsolver6v33100L15bdsvdx_abs_eigsIfEEviPiPT_lS4_
                                        ; -- End function
	.section	.AMDGPU.csdata,"",@progbits
; Kernel info:
; codeLenInByte = 272
; NumSgprs: 18
; NumVgprs: 4
; ScratchSize: 0
; MemoryBound: 0
; FloatMode: 240
; IeeeMode: 1
; LDSByteSize: 0 bytes/workgroup (compile time only)
; SGPRBlocks: 2
; VGPRBlocks: 0
; NumSGPRsForWavesPerEU: 18
; NumVGPRsForWavesPerEU: 4
; Occupancy: 16
; WaveLimiterHint : 0
; COMPUTE_PGM_RSRC2:SCRATCH_EN: 0
; COMPUTE_PGM_RSRC2:USER_SGPR: 14
; COMPUTE_PGM_RSRC2:TRAP_HANDLER: 0
; COMPUTE_PGM_RSRC2:TGID_X_EN: 1
; COMPUTE_PGM_RSRC2:TGID_Y_EN: 1
; COMPUTE_PGM_RSRC2:TGID_Z_EN: 0
; COMPUTE_PGM_RSRC2:TIDIG_COMP_CNT: 0
	.section	.text._ZN9rocsolver6v33100L12stein_kernelIffPfEEviPT0_lS4_lPiS4_lS5_lS5_lT1_iilS5_lS5_S4_S5_S3_S3_,"axG",@progbits,_ZN9rocsolver6v33100L12stein_kernelIffPfEEviPT0_lS4_lPiS4_lS5_lS5_lT1_iilS5_lS5_S4_S5_S3_S3_,comdat
	.globl	_ZN9rocsolver6v33100L12stein_kernelIffPfEEviPT0_lS4_lPiS4_lS5_lS5_lT1_iilS5_lS5_S4_S5_S3_S3_ ; -- Begin function _ZN9rocsolver6v33100L12stein_kernelIffPfEEviPT0_lS4_lPiS4_lS5_lS5_lT1_iilS5_lS5_S4_S5_S3_S3_
	.p2align	8
	.type	_ZN9rocsolver6v33100L12stein_kernelIffPfEEviPT0_lS4_lPiS4_lS5_lS5_lT1_iilS5_lS5_S4_S5_S3_S3_,@function
_ZN9rocsolver6v33100L12stein_kernelIffPfEEviPT0_lS4_lPiS4_lS5_lS5_lT1_iilS5_lS5_S4_S5_S3_S3_: ; @_ZN9rocsolver6v33100L12stein_kernelIffPfEEviPT0_lS4_lPiS4_lS5_lS5_lT1_iilS5_lS5_S4_S5_S3_S3_
; %bb.0:
	s_mov_b32 s46, s15
	s_load_b512 s[4:19], s[0:1], 0x8
	s_ashr_i32 s47, s46, 31
	s_delay_alu instid0(SALU_CYCLE_1)
	s_lshl_b64 s[20:21], s[46:47], 2
	s_waitcnt lgkmcnt(0)
	s_add_u32 s2, s12, s20
	s_addc_u32 s3, s13, s21
	s_load_b32 s12, s[2:3], 0x0
	s_waitcnt lgkmcnt(0)
	s_cmp_lt_i32 s12, 1
	s_cbranch_scc1 .LBB8_255
; %bb.1:
	s_clause 0x1
	s_load_b256 s[36:43], s[0:1], 0x70
	s_load_b128 s[28:31], s[0:1], 0x90
	s_mov_b64 s[44:45], 0
	s_waitcnt lgkmcnt(0)
	s_cmp_eq_u64 s[38:39], 0
	s_cbranch_scc1 .LBB8_3
; %bb.2:
	s_mul_i32 s2, s46, s41
	s_mul_hi_u32 s3, s46, s40
	s_mul_i32 s13, s47, s40
	s_add_i32 s2, s3, s2
	s_delay_alu instid0(SALU_CYCLE_1) | instskip(SKIP_1) | instid1(SALU_CYCLE_1)
	s_add_i32 s3, s2, s13
	s_mul_i32 s2, s46, s40
	s_lshl_b64 s[2:3], s[2:3], 2
	s_delay_alu instid0(SALU_CYCLE_1)
	s_add_u32 s44, s38, s2
	s_addc_u32 s45, s39, s3
.LBB8_3:
                                        ; implicit-def: $vgpr44 : SGPR spill to VGPR lane
	v_cmp_eq_u32_e64 s2, 0, v0
	v_writelane_b32 v44, s20, 0
	v_writelane_b32 v44, s21, 1
	s_delay_alu instid0(VALU_DEP_3)
	s_and_saveexec_b32 s3, s2
	s_cbranch_execz .LBB8_5
; %bb.4:
	v_mov_b32_e32 v1, 0
	ds_store_b32 v1, v1
.LBB8_5:
	s_or_b32 exec_lo, exec_lo, s3
	v_cmp_gt_u32_e32 vcc_lo, s12, v0
	s_cmp_lg_u64 s[44:45], 0
	v_lshlrev_b32_e32 v3, 2, v0
	s_cselect_b32 s22, -1, 0
	s_delay_alu instid0(SALU_CYCLE_1) | instskip(NEXT) | instid1(SALU_CYCLE_1)
	s_and_b32 s3, vcc_lo, s22
	s_and_saveexec_b32 s13, s3
	s_cbranch_execz .LBB8_8
; %bb.6:
	v_add_co_u32 v1, s3, s44, v3
	v_dual_mov_b32 v4, 0 :: v_dual_mov_b32 v5, v0
	v_add_co_ci_u32_e64 v2, null, s45, 0, s3
	s_mov_b32 s20, 0
.LBB8_7:                                ; =>This Inner Loop Header: Depth=1
	s_delay_alu instid0(VALU_DEP_2) | instskip(SKIP_2) | instid1(VALU_DEP_1)
	v_add_nc_u32_e32 v5, 0x100, v5
	flat_store_b32 v[1:2], v4
	v_add_co_u32 v1, s3, 0x400, v1
	v_add_co_ci_u32_e64 v2, s3, 0, v2, s3
	v_cmp_le_i32_e32 vcc_lo, s12, v5
	s_or_b32 s20, vcc_lo, s20
	s_delay_alu instid0(SALU_CYCLE_1)
	s_and_not1_b32 exec_lo, exec_lo, s20
	s_cbranch_execnz .LBB8_7
.LBB8_8:
	v_writelane_b32 v44, s36, 2
	v_writelane_b32 v44, s37, 3
	;; [unrolled: 1-line block ×8, first 2 shown]
	s_or_b32 exec_lo, exec_lo, s13
	s_load_b256 s[36:43], s[0:1], 0x48
	s_mov_b32 s23, 0
	v_mov_b32_e32 v21, 0
	s_waitcnt lgkmcnt(0)
	s_mul_i32 s3, s46, s37
	s_mul_hi_u32 s13, s46, s36
	s_mul_i32 s21, s47, s36
	s_add_i32 s3, s13, s3
	s_mul_i32 s20, s46, s36
	s_add_i32 s21, s3, s21
	s_mov_b32 s13, s23
	s_lshl_b64 s[20:21], s[20:21], 2
	s_delay_alu instid0(SALU_CYCLE_1) | instskip(SKIP_2) | instid1(SALU_CYCLE_1)
	s_add_u32 s33, s18, s20
	s_addc_u32 s78, s19, s21
	s_lshl_b64 s[18:19], s[12:13], 2
	s_add_u32 s18, s33, s18
	s_addc_u32 s19, s78, s19
	global_load_b32 v7, v21, s[18:19] offset:-4
	s_waitcnt vmcnt(0)
	v_cmp_gt_i32_e32 vcc_lo, 1, v7
	s_cbranch_vccnz .LBB8_253
; %bb.9:
	s_load_b32 s24, s[0:1], 0x0
	s_mul_i32 s3, s46, s7
	s_mul_hi_u32 s7, s46, s6
	s_mul_i32 s13, s47, s6
	s_add_i32 s3, s7, s3
	s_mul_i32 s6, s46, s6
	s_add_i32 s7, s3, s13
	s_mul_i32 s21, s46, s11
	s_mul_hi_u32 s26, s46, s10
	s_mul_i32 s27, s47, s10
	s_mul_i32 s20, s46, s10
	s_clause 0x1
	s_load_b64 s[10:11], s[0:1], 0x68
	s_load_b64 s[36:37], s[0:1], 0xa0
	s_lshl_b64 s[0:1], s[6:7], 2
	s_mul_i32 s17, s46, s17
	s_mul_hi_u32 s34, s46, s16
	s_mul_i32 s3, s46, s41
	s_mul_i32 s6, s47, s40
	v_readlane_b32 s48, v44, 2
	v_readlane_b32 s49, v44, 3
	v_add3_u32 v24, 8, 0x800, v3
	s_waitcnt lgkmcnt(0)
	s_ashr_i32 s25, s24, 31
	s_add_u32 s13, s4, s0
	s_addc_u32 s79, s5, s1
	s_add_i32 s0, s26, s21
	s_mul_i32 s1, s47, s16
	s_add_i32 s21, s0, s27
	s_mul_i32 s0, s46, s16
	s_lshl_b64 s[4:5], s[20:21], 2
	s_mov_b64 s[20:21], s[48:49]
	s_add_u32 s80, s8, s4
	s_addc_u32 s81, s9, s5
	s_add_i32 s4, s34, s17
	s_mul_hi_u32 s5, s46, s40
	s_add_i32 s1, s4, s1
	s_mul_i32 s4, s46, s40
	s_lshl_b64 s[0:1], s[0:1], 2
	v_div_scale_f32 v1, null, s37, s37, 1.0
	s_add_u32 s82, s14, s0
	s_addc_u32 s83, s15, s1
	s_add_i32 s0, s5, s3
	s_mul_i32 s3, s24, 5
	s_add_i32 s5, s0, s6
	s_mul_hi_i32 s7, s3, s46
	s_lshl_b64 s[0:1], s[4:5], 2
	s_mul_i32 s6, s3, s46
	s_add_u32 s84, s38, s0
	s_addc_u32 s85, s39, s1
	s_lshl_b64 s[0:1], s[6:7], 2
	s_mul_hi_i32 s5, s24, s46
	s_mul_i32 s4, s24, s46
	s_add_u32 s14, s0, s28
	s_addc_u32 s15, s1, s29
	s_lshl_b64 s[0:1], s[4:5], 2
	s_mul_hi_u32 s3, s46, s20
	s_add_u32 s86, s30, s0
	s_mul_i32 s0, s46, s21
	v_rcp_f32_e32 v2, v1
	s_addc_u32 s87, s31, s1
	s_add_i32 s0, s3, s0
	s_mul_i32 s1, s47, s20
	s_ashr_i32 s5, s10, 31
	s_add_i32 s1, s0, s1
	s_mul_i32 s0, s46, s20
	s_mov_b32 s4, s10
	s_lshl_b64 s[0:1], s[0:1], 2
	s_mul_i32 s16, s24, 3
	s_add_u32 s3, s42, s0
	s_addc_u32 s8, s43, s1
	s_lshl_b64 s[0:1], s[4:5], 2
	s_waitcnt_depctr 0xfff
	v_fma_f32 v4, -v1, v2, 1.0
	s_add_u32 s10, s3, s0
	s_addc_u32 s88, s8, s1
	s_ashr_i32 s17, s16, 31
	v_add_nc_u32_e32 v23, 8, v3
	s_lshl_b64 s[0:1], s[16:17], 2
	v_fmac_f32_e32 v2, v4, v2
	v_div_scale_f32 v4, vcc_lo, 1.0, s37, 1.0
	s_add_u32 s20, s14, s0
	s_addc_u32 s21, s15, s1
	s_lshl_b64 s[8:9], s[24:25], 3
	s_delay_alu instid0(VALU_DEP_1)
	v_mul_f32_e32 v5, v4, v2
	s_sub_u32 s30, s20, s8
	s_subb_u32 s31, s21, s9
	s_lshl_b64 s[0:1], s[24:25], 2
	s_mul_i32 s5, s24, -12
	s_add_u32 s38, s30, s0
	s_addc_u32 s39, s31, s1
	s_add_u32 s40, s38, s8
	v_fma_f32 v8, -v1, v5, v4
	s_addc_u32 s41, s39, s9
	s_mul_hi_i32 s4, s24, -12
	s_add_u32 s5, s40, s5
	s_addc_u32 s4, s41, s4
	s_add_u32 s42, s5, 4
	s_addc_u32 s43, s4, 0
	s_and_b32 s25, s2, s22
	v_dual_fmac_f32 v5, v8, v2 :: v_dual_mov_b32 v26, 1.0
	s_add_u32 s89, s84, -4
	s_addc_u32 s90, s85, -1
	s_add_u32 s91, s13, -4
	s_addc_u32 s92, s79, -1
	s_add_u32 s93, s80, -8
	v_fma_f32 v1, -v1, v5, v4
	s_addc_u32 s94, s81, -1
	v_add_nc_u32_e32 v4, s24, v0
	s_add_u32 s95, s14, -4
	s_addc_u32 s96, s15, -1
	s_add_u32 s97, s80, 4
	s_addc_u32 s98, s81, 0
	v_max_f32_e64 v6, s36, s36
	v_div_fmas_f32 v1, v1, v2, v5
	s_add_u32 s99, s13, 4
	v_ashrrev_i32_e32 v5, 31, v4
	s_addc_u32 s100, s79, 0
	s_add_u32 s101, s14, 4
	s_addc_u32 s102, s15, 0
	s_lshl_b32 s103, s24, 1
	s_add_u32 s46, s20, 8
	v_dual_max_f32 v22, 0, v6 :: v_dual_mov_b32 v27, 1
	v_lshlrev_b64 v[5:6], 2, v[4:5]
	s_addc_u32 s47, s21, 0
	s_add_u32 s6, s6, s16
	v_div_fixup_f32 v25, v1, s37, 1.0
	v_add_co_u32 v1, s5, s14, v3
	s_addc_u32 s7, s7, s17
	v_add_co_ci_u32_e64 v2, null, s15, 0, s5
	v_add_co_u32 v3, s5, s20, v3
	s_lshl_b64 s[6:7], s[6:7], 2
	v_add_co_ci_u32_e64 v4, null, s21, 0, s5
	v_add_co_u32 v5, vcc_lo, s101, v5
	s_sub_u32 s5, s6, s8
	s_subb_u32 s6, s7, s9
	v_cmp_gt_u32_e64 s0, 0x80, v0
	v_cmp_gt_u32_e64 s1, 64, v0
	;; [unrolled: 1-line block ×3, first 2 shown]
	v_cmp_gt_i32_e64 s4, s24, v0
	v_add_co_ci_u32_e32 v6, vcc_lo, s102, v6, vcc_lo
	s_add_u32 s5, s5, s28
	v_mov_b32_e32 v28, 8
	v_readlane_b32 s50, v44, 4
	v_readlane_b32 s51, v44, 5
	s_addc_u32 s6, s6, s29
	v_readlane_b32 s52, v44, 6
	s_add_u32 s28, s5, 8
	s_mov_b32 s48, 0x9999999a
	s_mov_b32 s50, 0xff800000
	;; [unrolled: 1-line block ×4, first 2 shown]
	s_addc_u32 s29, s6, 0
	s_mov_b32 s52, s23
	s_mov_b32 s17, 0
	v_readlane_b32 s53, v44, 7
	v_readlane_b32 s54, v44, 8
	;; [unrolled: 1-line block ×3, first 2 shown]
                                        ; implicit-def: $vgpr29
                                        ; implicit-def: $vgpr32
                                        ; implicit-def: $vgpr33
                                        ; implicit-def: $sgpr104
                                        ; implicit-def: $vgpr30
	s_branch .LBB8_12
.LBB8_10:                               ;   in Loop: Header=BB8_12 Depth=1
	global_load_b32 v7, v21, s[18:19] offset:-4
	s_mov_b32 s17, s7
.LBB8_11:                               ;   in Loop: Header=BB8_12 Depth=1
	s_add_i32 s52, s52, 1
	s_waitcnt vmcnt(0)
	v_cmp_ge_i32_e32 vcc_lo, s52, v7
	s_cbranch_vccnz .LBB8_253
.LBB8_12:                               ; =>This Loop Header: Depth=1
                                        ;     Child Loop BB8_18 Depth 2
                                        ;     Child Loop BB8_23 Depth 2
                                        ;       Child Loop BB8_34 Depth 3
                                        ;       Child Loop BB8_37 Depth 3
	;; [unrolled: 1-line block ×5, first 2 shown]
                                        ;         Child Loop BB8_108 Depth 4
                                        ;         Child Loop BB8_111 Depth 4
	;; [unrolled: 1-line block ×4, first 2 shown]
                                        ;           Child Loop BB8_128 Depth 5
                                        ;         Child Loop BB8_140 Depth 4
                                        ;           Child Loop BB8_141 Depth 5
                                        ;           Child Loop BB8_143 Depth 5
                                        ;         Child Loop BB8_148 Depth 4
                                        ;       Child Loop BB8_191 Depth 3
                                        ;       Child Loop BB8_230 Depth 3
	;; [unrolled: 1-line block ×4, first 2 shown]
	s_cmp_eq_u32 s52, 0
	s_mov_b32 s54, 0
	s_cbranch_scc1 .LBB8_14
; %bb.13:                               ;   in Loop: Header=BB8_12 Depth=1
	s_mov_b32 s53, s23
	s_delay_alu instid0(SALU_CYCLE_1) | instskip(NEXT) | instid1(SALU_CYCLE_1)
	s_lshl_b64 s[6:7], s[52:53], 2
	s_add_u32 s6, s89, s6
	s_addc_u32 s7, s90, s7
	global_load_b32 v8, v21, s[6:7]
	s_mov_b64 s[6:7], s[52:53]
	s_waitcnt vmcnt(0)
	v_readfirstlane_b32 s54, v8
	s_branch .LBB8_15
.LBB8_14:                               ;   in Loop: Header=BB8_12 Depth=1
	s_mov_b64 s[6:7], 0
.LBB8_15:                               ;   in Loop: Header=BB8_12 Depth=1
	s_delay_alu instid0(SALU_CYCLE_1) | instskip(NEXT) | instid1(SALU_CYCLE_1)
	s_lshl_b64 s[6:7], s[6:7], 2
	s_add_u32 s6, s84, s6
	s_addc_u32 s7, s85, s7
	s_not_b32 s5, s54
	global_load_b32 v8, v21, s[6:7]
	s_waitcnt vmcnt(0)
	v_readfirstlane_b32 s56, v8
	v_subrev_nc_u32_e32 v31, s54, v8
	s_delay_alu instid0(VALU_DEP_2) | instskip(NEXT) | instid1(SALU_CYCLE_1)
	s_add_i32 s58, s5, s56
	s_cmp_lt_i32 s58, 1
	s_cselect_b32 s53, -1, 0
	s_delay_alu instid0(SALU_CYCLE_1)
	s_and_b32 vcc_lo, exec_lo, s53
	s_cbranch_vccnz .LBB8_20
; %bb.16:                               ;   in Loop: Header=BB8_12 Depth=1
	s_ashr_i32 s55, s54, 31
	s_delay_alu instid0(SALU_CYCLE_1) | instskip(NEXT) | instid1(SALU_CYCLE_1)
	s_lshl_b64 s[8:9], s[54:55], 2
	s_add_u32 s6, s13, s8
	s_addc_u32 s7, s79, s9
	s_add_u32 s26, s80, s8
	s_addc_u32 s27, s81, s9
	s_ashr_i32 s57, s56, 31
	s_delay_alu instid0(SALU_CYCLE_1) | instskip(NEXT) | instid1(SALU_CYCLE_1)
	s_lshl_b64 s[34:35], s[56:57], 2
	s_add_u32 s60, s91, s34
	s_addc_u32 s61, s92, s35
	s_add_i32 s5, s56, -2
	s_add_u32 s34, s93, s34
	s_addc_u32 s35, s94, s35
	s_clause 0x3
	global_load_b32 v9, v21, s[6:7]
	global_load_b32 v8, v21, s[26:27]
	;; [unrolled: 1-line block ×4, first 2 shown]
	s_cmp_ge_i32 s54, s5
	s_waitcnt vmcnt(2)
	v_add_f32_e64 v9, |v9|, |v8|
	s_waitcnt vmcnt(0)
	v_add_f32_e64 v10, |v10|, |v11|
	s_delay_alu instid0(VALU_DEP_1)
	v_cmp_lt_f32_e32 vcc_lo, v9, v10
	v_cndmask_b32_e32 v30, v9, v10, vcc_lo
	s_cbranch_scc1 .LBB8_19
; %bb.17:                               ;   in Loop: Header=BB8_12 Depth=1
	s_add_u32 s6, s97, s8
	s_addc_u32 s7, s98, s9
	s_add_u32 s8, s99, s8
	s_addc_u32 s9, s100, s9
	s_mov_b32 s22, s54
	.p2align	6
.LBB8_18:                               ;   Parent Loop BB8_12 Depth=1
                                        ; =>  This Inner Loop Header: Depth=2
	global_load_b32 v9, v21, s[8:9]
	s_add_i32 s22, s22, 1
	s_waitcnt vmcnt(0)
	v_add_f32_e64 v9, |v8|, |v9|
	global_load_b32 v8, v21, s[6:7]
	s_add_u32 s6, s6, 4
	s_addc_u32 s7, s7, 0
	s_add_u32 s8, s8, 4
	s_addc_u32 s9, s9, 0
	s_cmp_lt_i32 s22, s5
	s_waitcnt vmcnt(0)
	v_add_f32_e64 v9, v9, |v8|
	s_delay_alu instid0(VALU_DEP_1)
	v_cmp_lt_f32_e32 vcc_lo, v30, v9
	v_cndmask_b32_e32 v30, v30, v9, vcc_lo
	s_cbranch_scc1 .LBB8_18
.LBB8_19:                               ;   in Loop: Header=BB8_12 Depth=1
	v_cvt_f64_u32_e32 v[8:9], v31
	s_mov_b32 s104, s17
	s_delay_alu instid0(VALU_DEP_2) | instskip(NEXT) | instid1(VALU_DEP_2)
	v_mul_f32_e32 v33, 0x3a83126f, v30
	v_div_scale_f64 v[10:11], null, v[8:9], v[8:9], s[48:49]
	v_div_scale_f64 v[16:17], vcc_lo, s[48:49], v[8:9], s[48:49]
	s_delay_alu instid0(VALU_DEP_2) | instskip(SKIP_2) | instid1(VALU_DEP_1)
	v_rcp_f64_e32 v[12:13], v[10:11]
	s_waitcnt_depctr 0xfff
	v_fma_f64 v[14:15], -v[10:11], v[12:13], 1.0
	v_fma_f64 v[12:13], v[12:13], v[14:15], v[12:13]
	s_delay_alu instid0(VALU_DEP_1) | instskip(NEXT) | instid1(VALU_DEP_1)
	v_fma_f64 v[14:15], -v[10:11], v[12:13], 1.0
	v_fma_f64 v[12:13], v[12:13], v[14:15], v[12:13]
	s_delay_alu instid0(VALU_DEP_1) | instskip(NEXT) | instid1(VALU_DEP_1)
	v_mul_f64 v[14:15], v[16:17], v[12:13]
	v_fma_f64 v[10:11], -v[10:11], v[14:15], v[16:17]
	s_delay_alu instid0(VALU_DEP_1) | instskip(NEXT) | instid1(VALU_DEP_1)
	v_div_fmas_f64 v[10:11], v[10:11], v[12:13], v[14:15]
	v_div_fixup_f64 v[8:9], v[10:11], v[8:9], s[48:49]
	s_delay_alu instid0(VALU_DEP_1) | instskip(SKIP_3) | instid1(VALU_DEP_1)
	v_cmp_gt_f64_e32 vcc_lo, 0x10000000, v[8:9]
	v_cndmask_b32_e64 v10, 0, 1, vcc_lo
	s_and_b32 s5, vcc_lo, exec_lo
	s_cselect_b32 s5, 0xffffff80, 0
	v_lshlrev_b32_e32 v10, 8, v10
	s_delay_alu instid0(VALU_DEP_1) | instskip(NEXT) | instid1(VALU_DEP_1)
	v_ldexp_f64 v[8:9], v[8:9], v10
	v_rsq_f64_e32 v[10:11], v[8:9]
	v_cmp_class_f64_e64 vcc_lo, v[8:9], 0x260
	s_waitcnt_depctr 0xfff
	v_mul_f64 v[12:13], v[8:9], v[10:11]
	v_mul_f64 v[10:11], v[10:11], 0.5
	s_delay_alu instid0(VALU_DEP_1) | instskip(NEXT) | instid1(VALU_DEP_1)
	v_fma_f64 v[14:15], -v[10:11], v[12:13], 0.5
	v_fma_f64 v[12:13], v[12:13], v[14:15], v[12:13]
	v_fma_f64 v[10:11], v[10:11], v[14:15], v[10:11]
	s_delay_alu instid0(VALU_DEP_2) | instskip(NEXT) | instid1(VALU_DEP_1)
	v_fma_f64 v[14:15], -v[12:13], v[12:13], v[8:9]
	v_fma_f64 v[12:13], v[14:15], v[10:11], v[12:13]
	s_delay_alu instid0(VALU_DEP_1) | instskip(NEXT) | instid1(VALU_DEP_1)
	v_fma_f64 v[14:15], -v[12:13], v[12:13], v[8:9]
	v_fma_f64 v[10:11], v[14:15], v[10:11], v[12:13]
	s_delay_alu instid0(VALU_DEP_1) | instskip(NEXT) | instid1(VALU_DEP_1)
	v_ldexp_f64 v[10:11], v[10:11], s5
	v_dual_cndmask_b32 v9, v11, v9 :: v_dual_cndmask_b32 v8, v10, v8
	s_delay_alu instid0(VALU_DEP_1)
	v_cvt_f32_f64_e32 v32, v[8:9]
.LBB8_20:                               ;   in Loop: Header=BB8_12 Depth=1
	s_cmp_ge_i32 s17, s12
	s_cbranch_scc1 .LBB8_11
; %bb.21:                               ;   in Loop: Header=BB8_12 Depth=1
	s_ashr_i32 s57, s56, 31
	v_cvt_f32_u32_e32 v11, v31
	s_lshl_b64 s[6:7], s[56:57], 2
	v_add_nc_u32_e32 v7, s54, v0
	s_add_u32 s60, s91, s6
	s_addc_u32 s61, s92, s7
	v_mul_f32_e32 v34, v30, v11
	s_add_i32 s6, s58, s16
	v_ashrrev_i32_e32 v8, 31, v7
	s_ashr_i32 s7, s6, 31
	s_mov_b32 s59, s23
	s_lshl_b64 s[6:7], s[6:7], 2
	v_cmp_ge_i32_e64 s5, s58, v0
	s_add_u32 s62, s14, s6
	s_addc_u32 s63, s15, s7
	s_lshl_b64 s[8:9], s[58:59], 2
	v_lshlrev_b64 v[9:10], 2, v[7:8]
	s_add_u32 s64, s86, s8
	s_addc_u32 s65, s87, s9
	s_add_i32 s59, s58, -1
	s_add_u32 s66, s20, s8
	s_addc_u32 s67, s21, s9
	s_cmp_lg_u32 s58, 1
	v_add_co_u32 v7, vcc_lo, s13, v9
	s_cselect_b32 vcc_hi, -1, 0
	v_add_co_ci_u32_e32 v8, vcc_lo, s79, v10, vcc_lo
	s_ashr_i32 s55, s54, 31
	v_add_co_u32 v9, vcc_lo, s80, v9
	s_lshl_b64 s[8:9], s[54:55], 2
	v_add_co_ci_u32_e32 v10, vcc_lo, s81, v10, vcc_lo
	v_sub_co_u32 v11, vcc_lo, v1, s8
	v_cmp_gt_i32_e64 s6, s58, v0
	v_subrev_co_ci_u32_e32 v12, vcc_lo, s9, v2, vcc_lo
	v_mov_b32_e32 v35, v29
	s_mul_i32 s57, s52, s12
	s_sub_i32 s26, s56, s54
	s_mul_i32 s27, s11, s17
	s_mov_b32 s55, 0
	s_mov_b32 s68, s17
	s_branch .LBB8_23
.LBB8_22:                               ;   in Loop: Header=BB8_23 Depth=2
	s_set_inst_prefetch_distance 0x2
	s_or_b32 exec_lo, exec_lo, s8
	s_add_i32 s68, s68, 1
	s_add_i32 s55, s55, 1
	;; [unrolled: 1-line block ×3, first 2 shown]
	v_mov_b32_e32 v35, v29
	s_cmp_ge_i32 s68, s12
	s_mov_b32 s7, s17
	s_cselect_b32 s8, -1, 0
	s_waitcnt_vscnt null, 0x0
	s_barrier
	buffer_gl0_inv
	s_and_b32 vcc_lo, exec_lo, s8
	s_cbranch_vccnz .LBB8_10
.LBB8_23:                               ;   Parent Loop BB8_12 Depth=1
                                        ; =>  This Loop Header: Depth=2
                                        ;       Child Loop BB8_34 Depth 3
                                        ;       Child Loop BB8_37 Depth 3
	;; [unrolled: 1-line block ×5, first 2 shown]
                                        ;         Child Loop BB8_108 Depth 4
                                        ;         Child Loop BB8_111 Depth 4
	;; [unrolled: 1-line block ×4, first 2 shown]
                                        ;           Child Loop BB8_128 Depth 5
                                        ;         Child Loop BB8_140 Depth 4
                                        ;           Child Loop BB8_141 Depth 5
                                        ;           Child Loop BB8_143 Depth 5
                                        ;         Child Loop BB8_148 Depth 4
                                        ;       Child Loop BB8_191 Depth 3
                                        ;       Child Loop BB8_230 Depth 3
	;; [unrolled: 1-line block ×4, first 2 shown]
	s_ashr_i32 s69, s68, 31
	s_delay_alu instid0(SALU_CYCLE_1) | instskip(NEXT) | instid1(SALU_CYCLE_1)
	s_lshl_b64 s[8:9], s[68:69], 2
	s_add_u32 s34, s33, s8
	s_addc_u32 s35, s78, s9
	global_load_b32 v13, v21, s[34:35]
	s_waitcnt vmcnt(0)
	v_add_nc_u32_e32 v13, -1, v13
	s_delay_alu instid0(VALU_DEP_1)
	v_cmp_ne_u32_e32 vcc_lo, s52, v13
	s_cbranch_vccnz .LBB8_28
; %bb.24:                               ;   in Loop: Header=BB8_23 Depth=2
	s_add_u32 s8, s82, s8
	s_addc_u32 s9, s83, s9
	s_and_b32 vcc_lo, exec_lo, s53
	global_load_b32 v29, v21, s[8:9]
	s_cbranch_vccz .LBB8_29
; %bb.25:                               ;   in Loop: Header=BB8_23 Depth=2
	s_and_saveexec_b32 s7, s2
	s_cbranch_execz .LBB8_27
; %bb.26:                               ;   in Loop: Header=BB8_23 Depth=2
	global_store_b32 v21, v26, s[14:15]
.LBB8_27:                               ;   in Loop: Header=BB8_23 Depth=2
	s_or_b32 exec_lo, exec_lo, s7
	s_waitcnt vmcnt(0)
	s_waitcnt_vscnt null, 0x0
	s_barrier
	s_branch .LBB8_248
.LBB8_28:                               ;   in Loop: Header=BB8_23 Depth=2
	v_mov_b32_e32 v29, v35
	s_mov_b32 s7, s68
                                        ; implicit-def: $sgpr55
                                        ; implicit-def: $sgpr27
	s_cbranch_execz .LBB8_23
	s_branch .LBB8_10
.LBB8_29:                               ;   in Loop: Header=BB8_23 Depth=2
	s_cbranch_execz .LBB8_248
; %bb.30:                               ;   in Loop: Header=BB8_23 Depth=2
	s_add_i32 s7, s68, s57
	s_delay_alu instid0(SALU_CYCLE_1) | instskip(SKIP_1) | instid1(VALU_DEP_1)
	v_lshl_or_b32 v13, s7, 8, v0
	s_mov_b32 s7, exec_lo
	v_add_nc_u32_e32 v14, 1, v13
	s_delay_alu instid0(VALU_DEP_1) | instskip(NEXT) | instid1(VALU_DEP_1)
	v_mul_hi_i32 v15, 0x40000001, v14
	v_lshrrev_b32_e32 v16, 31, v15
	v_ashrrev_i32_e32 v15, 29, v15
	s_delay_alu instid0(VALU_DEP_1) | instskip(NEXT) | instid1(VALU_DEP_1)
	v_add_nc_u32_e32 v15, v15, v16
	v_mul_lo_u32 v15, 0x7fffffff, v15
	s_delay_alu instid0(VALU_DEP_1) | instskip(NEXT) | instid1(VALU_DEP_1)
	v_sub_nc_u32_e32 v14, v14, v15
	v_max_i32_e32 v15, 1, v14
	s_delay_alu instid0(VALU_DEP_1)
	v_mov_b32_e32 v16, v15
	v_cmpx_ne_u32_e32 0x7ffffffe, v13
; %bb.31:                               ;   in Loop: Header=BB8_23 Depth=2
	v_sub_nc_u32_e32 v13, 0x7ffffffe, v13
	s_delay_alu instid0(VALU_DEP_1) | instskip(NEXT) | instid1(VALU_DEP_1)
	v_mul_hi_i32 v14, 0x4000007d, v13
	v_lshrrev_b32_e32 v16, 31, v14
	v_ashrrev_i32_e32 v14, 29, v14
	s_delay_alu instid0(VALU_DEP_1) | instskip(NEXT) | instid1(VALU_DEP_1)
	v_add_nc_u32_e32 v14, v14, v16
	v_mul_lo_u32 v14, 0x7fffff07, v14
	s_delay_alu instid0(VALU_DEP_1) | instskip(NEXT) | instid1(VALU_DEP_1)
	v_sub_nc_u32_e32 v13, v13, v14
	v_max_i32_e32 v16, 1, v13
; %bb.32:                               ;   in Loop: Header=BB8_23 Depth=2
	s_or_b32 exec_lo, exec_lo, s7
	s_and_saveexec_b32 s8, s5
	s_cbranch_execz .LBB8_35
; %bb.33:                               ;   in Loop: Header=BB8_23 Depth=2
	v_dual_mov_b32 v14, v2 :: v_dual_mov_b32 v13, v1
	v_mov_b32_e32 v17, v0
	s_mov_b32 s9, 0
.LBB8_34:                               ;   Parent Loop BB8_12 Depth=1
                                        ;     Parent Loop BB8_23 Depth=2
                                        ; =>    This Inner Loop Header: Depth=3
	v_mul_hi_i32 v18, 0x5e4789c9, v15
	v_mul_hi_i32 v19, 0x4f7a09cd, v16
	s_delay_alu instid0(VALU_DEP_3) | instskip(NEXT) | instid1(VALU_DEP_3)
	v_add_nc_u32_e32 v17, 0x100, v17
	v_lshrrev_b32_e32 v20, 31, v18
	v_ashrrev_i32_e32 v18, 14, v18
	s_delay_alu instid0(VALU_DEP_4) | instskip(SKIP_1) | instid1(VALU_DEP_3)
	v_lshrrev_b32_e32 v36, 31, v19
	v_ashrrev_i32_e32 v19, 14, v19
	v_add_nc_u32_e32 v18, v18, v20
	s_delay_alu instid0(VALU_DEP_2) | instskip(NEXT) | instid1(VALU_DEP_2)
	v_add_nc_u32_e32 v19, v19, v36
	v_mul_i32_i24_e32 v20, 0xadc8, v18
	s_delay_alu instid0(VALU_DEP_2) | instskip(NEXT) | instid1(VALU_DEP_2)
	v_mul_i32_i24_e32 v36, 0xce26, v19
	v_sub_nc_u32_e32 v15, v15, v20
	s_delay_alu instid0(VALU_DEP_2) | instskip(NEXT) | instid1(VALU_DEP_2)
	v_sub_nc_u32_e32 v16, v16, v36
	v_mul_lo_u32 v15, 0xbc8f, v15
	s_delay_alu instid0(VALU_DEP_2) | instskip(NEXT) | instid1(VALU_DEP_2)
	v_mul_lo_u32 v16, 0x9ef4, v16
	v_mad_i32_i24 v15, 0xfffff2b9, v18, v15
	s_delay_alu instid0(VALU_DEP_2) | instskip(NEXT) | instid1(VALU_DEP_2)
	v_mad_i32_i24 v16, 0xfffff131, v19, v16
	v_ashrrev_i32_e32 v18, 31, v15
	s_delay_alu instid0(VALU_DEP_2) | instskip(NEXT) | instid1(VALU_DEP_2)
	v_ashrrev_i32_e32 v19, 31, v16
	v_and_b32_e32 v18, 0x7fffffff, v18
	s_delay_alu instid0(VALU_DEP_2) | instskip(NEXT) | instid1(VALU_DEP_2)
	v_and_b32_e32 v19, 0x7fffff07, v19
	v_add_nc_u32_e32 v15, v18, v15
	s_delay_alu instid0(VALU_DEP_2) | instskip(NEXT) | instid1(VALU_DEP_1)
	v_add_nc_u32_e32 v16, v19, v16
	v_sub_nc_u32_e32 v18, v15, v16
	s_delay_alu instid0(VALU_DEP_1) | instskip(NEXT) | instid1(VALU_DEP_1)
	v_ashrrev_i32_e32 v19, 31, v18
	v_and_b32_e32 v19, 0x7fffffff, v19
	s_delay_alu instid0(VALU_DEP_1) | instskip(NEXT) | instid1(VALU_DEP_1)
	v_add_nc_u32_e32 v18, v19, v18
	v_cvt_f64_i32_e32 v[18:19], v18
	s_delay_alu instid0(VALU_DEP_1) | instskip(SKIP_1) | instid1(VALU_DEP_2)
	v_div_scale_f64 v[36:37], null, s[50:51], s[50:51], v[18:19]
	v_div_scale_f64 v[42:43], vcc_lo, v[18:19], s[50:51], v[18:19]
	v_rcp_f64_e32 v[38:39], v[36:37]
	s_waitcnt_depctr 0xfff
	v_fma_f64 v[40:41], -v[36:37], v[38:39], 1.0
	s_delay_alu instid0(VALU_DEP_1) | instskip(NEXT) | instid1(VALU_DEP_1)
	v_fma_f64 v[38:39], v[38:39], v[40:41], v[38:39]
	v_fma_f64 v[40:41], -v[36:37], v[38:39], 1.0
	s_delay_alu instid0(VALU_DEP_1) | instskip(NEXT) | instid1(VALU_DEP_1)
	v_fma_f64 v[38:39], v[38:39], v[40:41], v[38:39]
	v_mul_f64 v[40:41], v[42:43], v[38:39]
	s_delay_alu instid0(VALU_DEP_1) | instskip(NEXT) | instid1(VALU_DEP_1)
	v_fma_f64 v[36:37], -v[36:37], v[40:41], v[42:43]
	v_div_fmas_f64 v[36:37], v[36:37], v[38:39], v[40:41]
	v_cmp_lt_i32_e32 vcc_lo, s58, v17
	s_or_b32 s9, vcc_lo, s9
	s_delay_alu instid0(VALU_DEP_2) | instskip(NEXT) | instid1(VALU_DEP_1)
	v_div_fixup_f64 v[18:19], v[36:37], s[50:51], v[18:19]
	v_cvt_f32_f64_e32 v18, v[18:19]
	global_store_b32 v[13:14], v18, off
	v_add_co_u32 v13, s7, 0x400, v13
	s_delay_alu instid0(VALU_DEP_1)
	v_add_co_ci_u32_e64 v14, s7, 0, v14, s7
	s_and_not1_b32 exec_lo, exec_lo, s9
	s_cbranch_execnz .LBB8_34
.LBB8_35:                               ;   in Loop: Header=BB8_23 Depth=2
	s_or_b32 exec_lo, exec_lo, s8
	s_and_saveexec_b32 s8, s6
	s_cbranch_execz .LBB8_38
; %bb.36:                               ;   in Loop: Header=BB8_23 Depth=2
	v_dual_mov_b32 v14, v10 :: v_dual_mov_b32 v13, v9
	v_dual_mov_b32 v16, v8 :: v_dual_mov_b32 v15, v7
	v_dual_mov_b32 v18, v6 :: v_dual_mov_b32 v17, v5
	v_dual_mov_b32 v20, v4 :: v_dual_mov_b32 v19, v3
	v_mov_b32_e32 v36, v0
	s_mov_b32 s9, 0
	s_set_inst_prefetch_distance 0x1
	.p2align	6
.LBB8_37:                               ;   Parent Loop BB8_12 Depth=1
                                        ;     Parent Loop BB8_23 Depth=2
                                        ; =>    This Inner Loop Header: Depth=3
	global_load_b32 v37, v[15:16], off
	v_add_co_u32 v15, vcc_lo, 0x400, v15
	v_add_co_ci_u32_e32 v16, vcc_lo, 0, v16, vcc_lo
	s_waitcnt vmcnt(0)
	global_store_b32 v[19:20], v37, off
	global_load_b32 v39, v[13:14], off
	v_add_nc_u32_e32 v37, s103, v36
	v_add_nc_u32_e32 v36, 0x100, v36
	s_delay_alu instid0(VALU_DEP_2) | instskip(NEXT) | instid1(VALU_DEP_2)
	v_ashrrev_i32_e32 v38, 31, v37
	v_cmp_le_i32_e32 vcc_lo, s58, v36
	s_delay_alu instid0(VALU_DEP_2) | instskip(SKIP_1) | instid1(VALU_DEP_1)
	v_lshlrev_b64 v[37:38], 2, v[37:38]
	s_or_b32 s9, vcc_lo, s9
	v_add_co_u32 v37, s7, s14, v37
	s_delay_alu instid0(VALU_DEP_1) | instskip(SKIP_1) | instid1(VALU_DEP_1)
	v_add_co_ci_u32_e64 v38, s7, s15, v38, s7
	v_add_co_u32 v19, s7, 0x400, v19
	v_add_co_ci_u32_e64 v20, s7, 0, v20, s7
	v_add_co_u32 v13, s7, 0x400, v13
	s_delay_alu instid0(VALU_DEP_1) | instskip(SKIP_4) | instid1(VALU_DEP_1)
	v_add_co_ci_u32_e64 v14, s7, 0, v14, s7
	s_waitcnt vmcnt(0)
	global_store_b32 v[37:38], v39, off
	global_store_b32 v[17:18], v39, off
	v_add_co_u32 v17, s7, 0x400, v17
	v_add_co_ci_u32_e64 v18, s7, 0, v18, s7
	s_and_not1_b32 exec_lo, exec_lo, s9
	s_cbranch_execnz .LBB8_37
.LBB8_38:                               ;   in Loop: Header=BB8_23 Depth=2
	s_set_inst_prefetch_distance 0x2
	s_or_b32 exec_lo, exec_lo, s8
	s_and_saveexec_b32 s7, s2
	s_cbranch_execz .LBB8_40
; %bb.39:                               ;   in Loop: Header=BB8_23 Depth=2
	global_load_b32 v13, v21, s[60:61]
	s_waitcnt vmcnt(0)
	global_store_b32 v21, v13, s[62:63]
.LBB8_40:                               ;   in Loop: Header=BB8_23 Depth=2
	s_or_b32 exec_lo, exec_lo, s7
	s_waitcnt vmcnt(0)
	v_dual_mul_f32 v13, s36, v29 :: v_dual_sub_f32 v14, v29, v35
	s_cmp_eq_u32 s55, 0
	s_waitcnt_vscnt null, 0x0
	s_barrier
	s_delay_alu instid0(VALU_DEP_1)
	v_mul_f32_e64 v15, 0x41200000, |v13|
	v_fma_f32 v13, 0x41200000, |v13|, v35
	buffer_gl0_inv
	v_cmp_lt_f32_e32 vcc_lo, v14, v15
	v_cndmask_b32_e32 v13, v29, v13, vcc_lo
	s_cselect_b32 vcc_lo, -1, 0
	s_cmp_lg_u32 s55, 0
	s_cselect_b32 s69, -1, 0
	s_delay_alu instid0(VALU_DEP_1)
	v_cndmask_b32_e32 v29, v13, v29, vcc_lo
	s_and_saveexec_b32 s7, s2
	s_cbranch_execz .LBB8_67
; %bb.41:                               ;   in Loop: Header=BB8_23 Depth=2
	global_load_b32 v13, v21, s[20:21]
	s_mov_b64 s[8:9], 0
	s_mov_b32 s22, 1
	global_store_b32 v21, v21, s[64:65]
	s_waitcnt vmcnt(0)
	v_sub_f32_e32 v13, v13, v29
	global_store_b32 v21, v13, s[20:21]
	global_load_b32 v14, v21, s[30:31] offset:4
	s_waitcnt vmcnt(0)
	v_add_f32_e64 v13, |v13|, |v14|
	s_branch .LBB8_43
.LBB8_42:                               ;   in Loop: Header=BB8_43 Depth=3
	s_add_u32 s8, s8, 4
	s_addc_u32 s9, s9, 0
	s_add_i32 s22, s22, 1
	s_delay_alu instid0(SALU_CYCLE_1)
	s_cmp_eq_u32 s26, s22
	s_cbranch_scc1 .LBB8_64
.LBB8_43:                               ;   Parent Loop BB8_12 Depth=1
                                        ;     Parent Loop BB8_23 Depth=2
                                        ; =>    This Inner Loop Header: Depth=3
	s_add_i32 s35, s22, -1
	s_add_u32 s72, s20, s8
	s_addc_u32 s73, s21, s9
	s_add_u32 s70, s38, s8
	global_load_b32 v14, v21, s[72:73] offset:4
	s_addc_u32 s71, s39, s9
	s_cmp_lt_i32 s35, s59
	s_cselect_b32 s34, -1, 0
	s_cmp_ge_i32 s35, s59
	s_waitcnt vmcnt(0)
	v_sub_f32_e32 v16, v14, v29
	global_store_b32 v21, v16, s[72:73] offset:4
	global_load_b32 v17, v21, s[70:71]
	s_waitcnt vmcnt(0)
	v_add_f32_e64 v14, |v16|, |v17|
	s_cbranch_scc1 .LBB8_45
; %bb.44:                               ;   in Loop: Header=BB8_43 Depth=3
	s_add_u32 s74, s30, s8
	s_addc_u32 s75, s31, s9
	global_load_b32 v15, v21, s[74:75] offset:8
	s_waitcnt vmcnt(0)
	v_add_f32_e64 v14, v14, |v15|
.LBB8_45:                               ;   in Loop: Header=BB8_43 Depth=3
	global_load_b32 v19, v21, s[72:73]
	v_mov_b32_e32 v15, 0
	s_waitcnt vmcnt(0)
	v_cmp_eq_f32_e32 vcc_lo, 0, v19
	s_cbranch_vccnz .LBB8_47
; %bb.46:                               ;   in Loop: Header=BB8_43 Depth=3
	v_and_b32_e32 v15, 0x7fffffff, v19
	s_delay_alu instid0(VALU_DEP_1) | instskip(NEXT) | instid1(VALU_DEP_1)
	v_div_scale_f32 v18, null, v13, v13, v15
	v_rcp_f32_e32 v20, v18
	s_waitcnt_depctr 0xfff
	v_fma_f32 v36, -v18, v20, 1.0
	s_delay_alu instid0(VALU_DEP_1) | instskip(SKIP_1) | instid1(VALU_DEP_1)
	v_fmac_f32_e32 v20, v36, v20
	v_div_scale_f32 v15, vcc_lo, v15, v13, v15
	v_mul_f32_e32 v36, v15, v20
	s_delay_alu instid0(VALU_DEP_1) | instskip(NEXT) | instid1(VALU_DEP_1)
	v_fma_f32 v37, -v18, v36, v15
	v_fmac_f32_e32 v36, v37, v20
	s_delay_alu instid0(VALU_DEP_1) | instskip(NEXT) | instid1(VALU_DEP_1)
	v_fma_f32 v15, -v18, v36, v15
	v_div_fmas_f32 v15, v15, v20, v36
	s_delay_alu instid0(VALU_DEP_1)
	v_div_fixup_f32 v15, v15, v13, |v19|
.LBB8_47:                               ;   in Loop: Header=BB8_43 Depth=3
	v_cmp_neq_f32_e32 vcc_lo, 0, v17
	s_cbranch_vccz .LBB8_52
; %bb.48:                               ;   in Loop: Header=BB8_43 Depth=3
	v_and_b32_e32 v18, 0x7fffffff, v17
	s_add_u32 s74, s86, s8
	s_addc_u32 s75, s87, s9
	s_delay_alu instid0(VALU_DEP_1) | instskip(SKIP_1) | instid1(VALU_DEP_2)
	v_div_scale_f32 v20, null, v14, v14, v18
	v_div_scale_f32 v18, vcc_lo, v18, v14, v18
	v_rcp_f32_e32 v36, v20
	s_waitcnt_depctr 0xfff
	v_fma_f32 v37, -v20, v36, 1.0
	s_delay_alu instid0(VALU_DEP_1) | instskip(NEXT) | instid1(VALU_DEP_1)
	v_fmac_f32_e32 v36, v37, v36
	v_mul_f32_e32 v37, v18, v36
	s_delay_alu instid0(VALU_DEP_1) | instskip(NEXT) | instid1(VALU_DEP_1)
	v_fma_f32 v38, -v20, v37, v18
	v_fmac_f32_e32 v37, v38, v36
	s_delay_alu instid0(VALU_DEP_1) | instskip(NEXT) | instid1(VALU_DEP_1)
	v_fma_f32 v18, -v20, v37, v18
	v_div_fmas_f32 v18, v18, v36, v37
	s_delay_alu instid0(VALU_DEP_1) | instskip(NEXT) | instid1(VALU_DEP_1)
	v_div_fixup_f32 v18, v18, v14, |v17|
	v_cmp_nle_f32_e32 vcc_lo, v18, v15
	s_cbranch_vccnz .LBB8_53
; %bb.49:                               ;   in Loop: Header=BB8_43 Depth=3
	v_div_scale_f32 v20, null, v19, v19, v17
	v_div_scale_f32 v38, vcc_lo, v17, v19, v17
	s_add_u32 s76, s30, s8
	s_delay_alu instid0(VALU_DEP_2) | instskip(SKIP_3) | instid1(VALU_DEP_1)
	v_rcp_f32_e32 v36, v20
	s_addc_u32 s77, s31, s9
	s_waitcnt_depctr 0xfff
	v_fma_f32 v37, -v20, v36, 1.0
	v_fmac_f32_e32 v36, v37, v36
	s_delay_alu instid0(VALU_DEP_1) | instskip(NEXT) | instid1(VALU_DEP_1)
	v_mul_f32_e32 v37, v38, v36
	v_fma_f32 v39, -v20, v37, v38
	s_delay_alu instid0(VALU_DEP_1) | instskip(NEXT) | instid1(VALU_DEP_1)
	v_fmac_f32_e32 v37, v39, v36
	v_fma_f32 v20, -v20, v37, v38
	s_delay_alu instid0(VALU_DEP_1) | instskip(SKIP_1) | instid1(VALU_DEP_1)
	v_div_fmas_f32 v20, v20, v36, v37
	s_and_not1_b32 vcc_lo, exec_lo, s34
	v_div_fixup_f32 v20, v20, v19, v17
	global_store_b32 v21, v20, s[70:71]
	s_clause 0x1
	global_load_b32 v36, v21, s[72:73] offset:4
	global_load_b32 v37, v21, s[76:77] offset:4
	s_waitcnt vmcnt(0)
	v_fma_f32 v20, -v20, v37, v36
	s_clause 0x1
	global_store_b32 v21, v21, s[74:75]
	global_store_b32 v21, v20, s[72:73] offset:4
	s_cbranch_vccnz .LBB8_51
; %bb.50:                               ;   in Loop: Header=BB8_43 Depth=3
	s_add_u32 s76, s40, s8
	s_addc_u32 s77, s41, s9
	global_store_b32 v21, v21, s[76:77]
.LBB8_51:                               ;   in Loop: Header=BB8_43 Depth=3
	v_mov_b32_e32 v20, v14
	s_cbranch_execz .LBB8_54
	s_branch .LBB8_57
.LBB8_52:                               ;   in Loop: Header=BB8_43 Depth=3
                                        ; implicit-def: $vgpr18
                                        ; implicit-def: $vgpr13
	s_branch .LBB8_58
.LBB8_53:                               ;   in Loop: Header=BB8_43 Depth=3
	v_mov_b32_e32 v20, v14
.LBB8_54:                               ;   in Loop: Header=BB8_43 Depth=3
	s_add_u32 s76, s30, s8
	s_addc_u32 s77, s31, s9
	global_store_b32 v21, v17, s[72:73]
	global_load_b32 v20, v21, s[76:77] offset:4
	v_div_scale_f32 v36, null, v17, v17, v19
	s_delay_alu instid0(VALU_DEP_1) | instskip(SKIP_2) | instid1(VALU_DEP_1)
	v_rcp_f32_e32 v37, v36
	s_waitcnt_depctr 0xfff
	v_fma_f32 v38, -v36, v37, 1.0
	v_fmac_f32_e32 v37, v38, v37
	v_div_scale_f32 v38, vcc_lo, v19, v17, v19
	s_delay_alu instid0(VALU_DEP_1) | instskip(NEXT) | instid1(VALU_DEP_1)
	v_mul_f32_e32 v39, v38, v37
	v_fma_f32 v40, -v36, v39, v38
	s_delay_alu instid0(VALU_DEP_1) | instskip(NEXT) | instid1(VALU_DEP_1)
	v_fmac_f32_e32 v39, v40, v37
	v_fma_f32 v36, -v36, v39, v38
	s_delay_alu instid0(VALU_DEP_1) | instskip(SKIP_1) | instid1(VALU_DEP_1)
	v_div_fmas_f32 v36, v36, v37, v39
	s_and_not1_b32 vcc_lo, exec_lo, s34
	v_div_fixup_f32 v17, v36, v17, v19
	s_waitcnt vmcnt(0)
	s_delay_alu instid0(VALU_DEP_1)
	v_fma_f32 v19, -v16, v17, v20
	s_clause 0x1
	global_store_b32 v21, v27, s[74:75]
	global_store_b32 v21, v19, s[72:73] offset:4
	s_cbranch_vccnz .LBB8_56
; %bb.55:                               ;   in Loop: Header=BB8_43 Depth=3
	global_load_b32 v19, v21, s[76:77] offset:8
	s_add_u32 s72, s40, s8
	s_addc_u32 s73, s41, s9
	s_waitcnt vmcnt(0)
	v_mul_f32_e64 v20, v19, -v17
	s_clause 0x1
	global_store_b32 v21, v19, s[72:73]
	global_store_b32 v21, v20, s[76:77] offset:8
.LBB8_56:                               ;   in Loop: Header=BB8_43 Depth=3
	v_mov_b32_e32 v20, v13
	s_clause 0x1
	global_store_b32 v21, v16, s[76:77] offset:4
	global_store_b32 v21, v17, s[70:71]
.LBB8_57:                               ;   in Loop: Header=BB8_43 Depth=3
	s_delay_alu instid0(VALU_DEP_1)
	v_mov_b32_e32 v13, v20
	s_cbranch_execnz .LBB8_61
.LBB8_58:                               ;   in Loop: Header=BB8_43 Depth=3
	s_add_u32 s70, s86, s8
	s_addc_u32 s71, s87, s9
	s_and_not1_b32 vcc_lo, exec_lo, s34
	global_store_b32 v21, v21, s[70:71]
	s_cbranch_vccnz .LBB8_60
; %bb.59:                               ;   in Loop: Header=BB8_43 Depth=3
	s_add_u32 s34, s40, s8
	s_addc_u32 s35, s41, s9
	global_store_b32 v21, v21, s[34:35]
.LBB8_60:                               ;   in Loop: Header=BB8_43 Depth=3
	v_dual_mov_b32 v18, 0 :: v_dual_mov_b32 v13, v14
.LBB8_61:                               ;   in Loop: Header=BB8_43 Depth=3
	s_delay_alu instid0(VALU_DEP_1) | instskip(NEXT) | instid1(VALU_DEP_1)
	v_dual_max_f32 v14, v18, v18 :: v_dual_max_f32 v15, v15, v15
	v_max_f32_e32 v14, v15, v14
	s_delay_alu instid0(VALU_DEP_1)
	v_cmp_nle_f32_e32 vcc_lo, v14, v22
	s_cbranch_vccnz .LBB8_42
; %bb.62:                               ;   in Loop: Header=BB8_43 Depth=3
	global_load_b32 v14, v21, s[64:65]
	s_waitcnt vmcnt(0)
	v_cmp_ne_u32_e32 vcc_lo, 0, v14
	s_cbranch_vccnz .LBB8_42
; %bb.63:                               ;   in Loop: Header=BB8_43 Depth=3
	v_mov_b32_e32 v14, s22
	global_store_b32 v21, v14, s[64:65]
	s_branch .LBB8_42
.LBB8_64:                               ;   in Loop: Header=BB8_23 Depth=2
	global_load_b32 v14, v21, s[66:67]
	v_mul_f32_e32 v13, v22, v13
	s_waitcnt vmcnt(0)
	s_delay_alu instid0(VALU_DEP_1) | instskip(NEXT) | instid1(VALU_DEP_1)
	v_cmp_le_f32_e64 s8, |v14|, v13
	s_and_b32 vcc_lo, exec_lo, s8
	s_cbranch_vccz .LBB8_67
; %bb.65:                               ;   in Loop: Header=BB8_23 Depth=2
	global_load_b32 v13, v21, s[64:65]
	s_waitcnt vmcnt(0)
	v_cmp_ne_u32_e32 vcc_lo, 0, v13
	s_cbranch_vccnz .LBB8_67
; %bb.66:                               ;   in Loop: Header=BB8_23 Depth=2
	global_store_b32 v21, v31, s[64:65]
.LBB8_67:                               ;   in Loop: Header=BB8_23 Depth=2
	s_or_b32 exec_lo, exec_lo, s7
	s_delay_alu instid0(VALU_DEP_1) | instskip(SKIP_2) | instid1(VALU_DEP_1)
	v_sub_f32_e32 v13, v29, v35
	s_mov_b32 s77, 0
	s_mov_b32 s34, 0
	v_cmp_gt_f32_e64 s76, |v13|, v33
	v_bfrev_b32_e32 v16, -2
	v_mov_b32_e32 v15, 0
	s_and_saveexec_b32 s8, s5
	s_cbranch_execz .LBB8_71
.LBB8_68:                               ;   in Loop: Header=BB8_23 Depth=2
	v_dual_mov_b32 v15, 0 :: v_dual_mov_b32 v14, v2
	v_bfrev_b32_e32 v16, -2
	v_mov_b32_e32 v13, v1
	v_mov_b32_e32 v17, v0
	s_mov_b32 s9, 0
	.p2align	6
.LBB8_69:                               ;   Parent Loop BB8_12 Depth=1
                                        ;     Parent Loop BB8_23 Depth=2
                                        ; =>    This Inner Loop Header: Depth=3
	global_load_b32 v18, v[13:14], off
	v_cmp_eq_u32_e32 vcc_lo, 0x7fffffff, v16
	v_add_nc_u32_e32 v19, 1, v17
	v_add_co_u32 v13, s7, 0x400, v13
	s_delay_alu instid0(VALU_DEP_1) | instskip(SKIP_2) | instid1(VALU_DEP_1)
	v_add_co_ci_u32_e64 v14, s7, 0, v14, s7
	s_waitcnt vmcnt(0)
	v_cmp_lt_f32_e64 s22, v15, |v18|
	s_or_b32 vcc_lo, s22, vcc_lo
	v_dual_cndmask_b32 v16, v16, v19 :: v_dual_add_nc_u32 v17, 0x100, v17
	v_cndmask_b32_e64 v15, v15, |v18|, vcc_lo
	s_delay_alu instid0(VALU_DEP_2) | instskip(NEXT) | instid1(VALU_DEP_1)
	v_cmp_lt_i32_e64 s7, s58, v17
	s_or_b32 s9, s7, s9
	s_delay_alu instid0(SALU_CYCLE_1)
	s_and_not1_b32 exec_lo, exec_lo, s9
	s_cbranch_execnz .LBB8_69
; %bb.70:                               ;   in Loop: Header=BB8_23 Depth=2
	s_or_b32 exec_lo, exec_lo, s9
.LBB8_71:                               ;   Parent Loop BB8_12 Depth=1
                                        ;     Parent Loop BB8_23 Depth=2
                                        ; =>    This Loop Header: Depth=3
                                        ;         Child Loop BB8_108 Depth 4
                                        ;         Child Loop BB8_111 Depth 4
	;; [unrolled: 1-line block ×4, first 2 shown]
                                        ;           Child Loop BB8_128 Depth 5
                                        ;         Child Loop BB8_140 Depth 4
                                        ;           Child Loop BB8_141 Depth 5
                                        ;           Child Loop BB8_143 Depth 5
                                        ;         Child Loop BB8_148 Depth 4
	s_delay_alu instid0(SALU_CYCLE_1)
	s_or_b32 exec_lo, exec_lo, s8
	ds_store_2addr_stride64_b32 v23, v15, v16 offset1:8
	s_waitcnt lgkmcnt(0)
	s_waitcnt_vscnt null, 0x0
	s_barrier
	buffer_gl0_inv
	s_and_saveexec_b32 s8, s0
	s_cbranch_execz .LBB8_77
; %bb.72:                               ;   in Loop: Header=BB8_71 Depth=3
	ds_load_b32 v13, v23 offset:512
	ds_load_b32 v14, v24 offset:512
	s_mov_b32 s22, exec_lo
	s_waitcnt lgkmcnt(1)
	v_cmp_lt_f32_e64 s9, v15, v13
	v_cmpx_nlt_f32_e32 v15, v13
	s_cbranch_execz .LBB8_74
; %bb.73:                               ;   in Loop: Header=BB8_71 Depth=3
	v_cmp_eq_f32_e32 vcc_lo, v15, v13
	s_waitcnt lgkmcnt(0)
	v_cmp_gt_i32_e64 s7, v16, v14
	s_and_not1_b32 s9, s9, exec_lo
	s_delay_alu instid0(VALU_DEP_1) | instskip(NEXT) | instid1(SALU_CYCLE_1)
	s_and_b32 s7, vcc_lo, s7
	s_and_b32 s7, s7, exec_lo
	s_delay_alu instid0(SALU_CYCLE_1)
	s_or_b32 s9, s9, s7
.LBB8_74:                               ;   in Loop: Header=BB8_71 Depth=3
	s_or_b32 exec_lo, exec_lo, s22
	s_delay_alu instid0(VALU_DEP_2)
	s_and_saveexec_b32 s7, s9
	s_cbranch_execz .LBB8_76
; %bb.75:                               ;   in Loop: Header=BB8_71 Depth=3
	s_waitcnt lgkmcnt(0)
	v_dual_mov_b32 v16, v14 :: v_dual_mov_b32 v15, v13
	ds_store_2addr_stride64_b32 v23, v13, v14 offset1:8
.LBB8_76:                               ;   in Loop: Header=BB8_71 Depth=3
	s_or_b32 exec_lo, exec_lo, s7
.LBB8_77:                               ;   in Loop: Header=BB8_71 Depth=3
	s_delay_alu instid0(SALU_CYCLE_1)
	s_or_b32 exec_lo, exec_lo, s8
	s_waitcnt lgkmcnt(0)
	s_barrier
	buffer_gl0_inv
	s_and_saveexec_b32 s8, s1
	s_cbranch_execz .LBB8_83
; %bb.78:                               ;   in Loop: Header=BB8_71 Depth=3
	ds_load_b32 v13, v23 offset:256
	ds_load_b32 v14, v24 offset:256
	s_mov_b32 s22, exec_lo
	s_waitcnt lgkmcnt(1)
	v_cmp_lt_f32_e64 s9, v15, v13
	v_cmpx_nlt_f32_e32 v15, v13
	s_cbranch_execz .LBB8_80
; %bb.79:                               ;   in Loop: Header=BB8_71 Depth=3
	v_cmp_eq_f32_e32 vcc_lo, v15, v13
	s_waitcnt lgkmcnt(0)
	v_cmp_gt_i32_e64 s7, v16, v14
	s_and_not1_b32 s9, s9, exec_lo
	s_delay_alu instid0(VALU_DEP_1) | instskip(NEXT) | instid1(SALU_CYCLE_1)
	s_and_b32 s7, vcc_lo, s7
	s_and_b32 s7, s7, exec_lo
	s_delay_alu instid0(SALU_CYCLE_1)
	s_or_b32 s9, s9, s7
.LBB8_80:                               ;   in Loop: Header=BB8_71 Depth=3
	s_or_b32 exec_lo, exec_lo, s22
	s_delay_alu instid0(VALU_DEP_2)
	s_and_saveexec_b32 s7, s9
	s_cbranch_execz .LBB8_82
; %bb.81:                               ;   in Loop: Header=BB8_71 Depth=3
	s_waitcnt lgkmcnt(0)
	v_dual_mov_b32 v16, v14 :: v_dual_mov_b32 v15, v13
	ds_store_2addr_stride64_b32 v23, v13, v14 offset1:8
.LBB8_82:                               ;   in Loop: Header=BB8_71 Depth=3
	s_or_b32 exec_lo, exec_lo, s7
.LBB8_83:                               ;   in Loop: Header=BB8_71 Depth=3
	s_delay_alu instid0(SALU_CYCLE_1)
	s_or_b32 exec_lo, exec_lo, s8
	s_waitcnt lgkmcnt(0)
	s_barrier
	buffer_gl0_inv
	s_and_saveexec_b32 s9, s3
	s_cbranch_execz .LBB8_106
; %bb.84:                               ;   in Loop: Header=BB8_71 Depth=3
	ds_load_b32 v13, v23 offset:128
	ds_load_b32 v14, v24 offset:128
	s_mov_b32 s22, exec_lo
	s_waitcnt lgkmcnt(1)
	v_cmp_lt_f32_e64 s8, v15, v13
	v_cmpx_nlt_f32_e32 v15, v13
	s_cbranch_execz .LBB8_86
; %bb.85:                               ;   in Loop: Header=BB8_71 Depth=3
	v_cmp_eq_f32_e32 vcc_lo, v15, v13
	s_waitcnt lgkmcnt(0)
	v_cmp_gt_i32_e64 s7, v16, v14
	s_and_not1_b32 s8, s8, exec_lo
	s_delay_alu instid0(VALU_DEP_1) | instskip(NEXT) | instid1(SALU_CYCLE_1)
	s_and_b32 s7, vcc_lo, s7
	s_and_b32 s7, s7, exec_lo
	s_delay_alu instid0(SALU_CYCLE_1)
	s_or_b32 s8, s8, s7
.LBB8_86:                               ;   in Loop: Header=BB8_71 Depth=3
	s_or_b32 exec_lo, exec_lo, s22
	s_delay_alu instid0(VALU_DEP_2)
	s_and_saveexec_b32 s7, s8
	s_cbranch_execz .LBB8_88
; %bb.87:                               ;   in Loop: Header=BB8_71 Depth=3
	s_waitcnt lgkmcnt(0)
	v_dual_mov_b32 v15, v13 :: v_dual_mov_b32 v16, v14
	ds_store_2addr_stride64_b32 v23, v13, v14 offset1:8
.LBB8_88:                               ;   in Loop: Header=BB8_71 Depth=3
	s_or_b32 exec_lo, exec_lo, s7
	ds_load_b32 v13, v23 offset:64
	s_waitcnt lgkmcnt(1)
	ds_load_b32 v14, v24 offset:64
	s_mov_b32 s22, exec_lo
	s_waitcnt lgkmcnt(1)
	v_cmp_lt_f32_e64 s8, v15, v13
	v_cmpx_nlt_f32_e32 v15, v13
	s_cbranch_execz .LBB8_90
; %bb.89:                               ;   in Loop: Header=BB8_71 Depth=3
	v_cmp_eq_f32_e32 vcc_lo, v15, v13
	s_waitcnt lgkmcnt(0)
	v_cmp_gt_i32_e64 s7, v16, v14
	s_and_not1_b32 s8, s8, exec_lo
	s_delay_alu instid0(VALU_DEP_1) | instskip(NEXT) | instid1(SALU_CYCLE_1)
	s_and_b32 s7, vcc_lo, s7
	s_and_b32 s7, s7, exec_lo
	s_delay_alu instid0(SALU_CYCLE_1)
	s_or_b32 s8, s8, s7
.LBB8_90:                               ;   in Loop: Header=BB8_71 Depth=3
	s_or_b32 exec_lo, exec_lo, s22
	s_delay_alu instid0(VALU_DEP_2)
	s_and_saveexec_b32 s7, s8
	s_cbranch_execz .LBB8_92
; %bb.91:                               ;   in Loop: Header=BB8_71 Depth=3
	s_waitcnt lgkmcnt(0)
	v_dual_mov_b32 v15, v13 :: v_dual_mov_b32 v16, v14
	ds_store_2addr_stride64_b32 v23, v13, v14 offset1:8
.LBB8_92:                               ;   in Loop: Header=BB8_71 Depth=3
	s_or_b32 exec_lo, exec_lo, s7
	ds_load_b32 v13, v23 offset:32
	s_waitcnt lgkmcnt(1)
	;; [unrolled: 29-line block ×3, first 2 shown]
	ds_load_b32 v14, v24 offset:16
	s_mov_b32 s22, exec_lo
	s_waitcnt lgkmcnt(1)
	v_cmp_lt_f32_e64 s8, v15, v13
	v_cmpx_nlt_f32_e32 v15, v13
	s_cbranch_execz .LBB8_98
; %bb.97:                               ;   in Loop: Header=BB8_71 Depth=3
	v_cmp_eq_f32_e32 vcc_lo, v15, v13
	s_waitcnt lgkmcnt(0)
	v_cmp_gt_i32_e64 s7, v16, v14
	s_and_not1_b32 s8, s8, exec_lo
	s_delay_alu instid0(VALU_DEP_1) | instskip(NEXT) | instid1(SALU_CYCLE_1)
	s_and_b32 s7, vcc_lo, s7
	s_and_b32 s7, s7, exec_lo
	s_delay_alu instid0(SALU_CYCLE_1)
	s_or_b32 s8, s8, s7
.LBB8_98:                               ;   in Loop: Header=BB8_71 Depth=3
	s_or_b32 exec_lo, exec_lo, s22
	s_delay_alu instid0(VALU_DEP_2)
	s_and_saveexec_b32 s7, s8
	s_cbranch_execz .LBB8_100
; %bb.99:                               ;   in Loop: Header=BB8_71 Depth=3
	s_waitcnt lgkmcnt(0)
	v_dual_mov_b32 v15, v13 :: v_dual_mov_b32 v16, v14
	ds_store_2addr_stride64_b32 v23, v13, v14 offset1:8
.LBB8_100:                              ;   in Loop: Header=BB8_71 Depth=3
	s_or_b32 exec_lo, exec_lo, s7
	ds_load_b32 v13, v23 offset:8
	s_waitcnt lgkmcnt(1)
	ds_load_b32 v14, v24 offset:8
	s_mov_b32 s22, exec_lo
	s_waitcnt lgkmcnt(1)
	v_cmp_lt_f32_e64 s8, v15, v13
	v_cmpx_nlt_f32_e32 v15, v13
	s_cbranch_execz .LBB8_102
; %bb.101:                              ;   in Loop: Header=BB8_71 Depth=3
	v_cmp_eq_f32_e32 vcc_lo, v15, v13
	s_waitcnt lgkmcnt(0)
	v_cmp_gt_i32_e64 s7, v16, v14
	s_and_not1_b32 s8, s8, exec_lo
	s_delay_alu instid0(VALU_DEP_1) | instskip(NEXT) | instid1(SALU_CYCLE_1)
	s_and_b32 s7, vcc_lo, s7
	s_and_b32 s7, s7, exec_lo
	s_delay_alu instid0(SALU_CYCLE_1)
	s_or_b32 s8, s8, s7
.LBB8_102:                              ;   in Loop: Header=BB8_71 Depth=3
	s_or_b32 exec_lo, exec_lo, s22
	s_delay_alu instid0(VALU_DEP_2)
	s_and_saveexec_b32 s7, s8
	s_cbranch_execz .LBB8_104
; %bb.103:                              ;   in Loop: Header=BB8_71 Depth=3
	s_waitcnt lgkmcnt(0)
	v_dual_mov_b32 v15, v13 :: v_dual_mov_b32 v16, v14
	ds_store_2addr_stride64_b32 v23, v13, v14 offset1:8
.LBB8_104:                              ;   in Loop: Header=BB8_71 Depth=3
	s_or_b32 exec_lo, exec_lo, s7
	ds_load_b32 v13, v23 offset:4
	s_waitcnt lgkmcnt(1)
	ds_load_b32 v14, v24 offset:4
	s_waitcnt lgkmcnt(1)
	v_cmp_eq_f32_e32 vcc_lo, v15, v13
	s_waitcnt lgkmcnt(0)
	v_cmp_gt_i32_e64 s7, v16, v14
	v_cmp_lt_f32_e64 s8, v15, v13
	s_delay_alu instid0(VALU_DEP_2)
	s_and_b32 s7, vcc_lo, s7
	s_delay_alu instid0(VALU_DEP_1) | instid1(SALU_CYCLE_1)
	s_or_b32 s7, s8, s7
	s_delay_alu instid0(SALU_CYCLE_1)
	s_and_b32 exec_lo, exec_lo, s7
	s_cbranch_execz .LBB8_106
; %bb.105:                              ;   in Loop: Header=BB8_71 Depth=3
	ds_store_2addr_stride64_b32 v23, v13, v14 offset1:8
.LBB8_106:                              ;   in Loop: Header=BB8_71 Depth=3
	s_or_b32 exec_lo, exec_lo, s9
	s_waitcnt lgkmcnt(0)
	s_barrier
	buffer_gl0_inv
	s_and_saveexec_b32 s8, s5
	s_cbranch_execz .LBB8_109
; %bb.107:                              ;   in Loop: Header=BB8_71 Depth=3
	global_load_b32 v13, v21, s[62:63]
	ds_load_b32 v15, v28
	s_mov_b32 s9, 0
	s_waitcnt vmcnt(0)
	v_cmp_gt_f32_e64 s7, |v13|, s36
	s_delay_alu instid0(VALU_DEP_1) | instskip(NEXT) | instid1(VALU_DEP_1)
	v_cndmask_b32_e64 v13, s36, |v13|, s7
	v_mul_f32_e32 v16, v34, v13
	s_waitcnt lgkmcnt(0)
	s_delay_alu instid0(VALU_DEP_1) | instskip(SKIP_1) | instid1(VALU_DEP_2)
	v_div_scale_f32 v13, null, v15, v15, v16
	v_div_scale_f32 v18, vcc_lo, v16, v15, v16
	v_rcp_f32_e32 v14, v13
	s_waitcnt_depctr 0xfff
	v_fma_f32 v17, -v13, v14, 1.0
	s_delay_alu instid0(VALU_DEP_1) | instskip(NEXT) | instid1(VALU_DEP_1)
	v_fmac_f32_e32 v14, v17, v14
	v_mul_f32_e32 v17, v18, v14
	s_delay_alu instid0(VALU_DEP_1) | instskip(NEXT) | instid1(VALU_DEP_1)
	v_fma_f32 v19, -v13, v17, v18
	v_fmac_f32_e32 v17, v19, v14
	s_delay_alu instid0(VALU_DEP_1) | instskip(NEXT) | instid1(VALU_DEP_1)
	v_fma_f32 v13, -v13, v17, v18
	v_div_fmas_f32 v17, v13, v14, v17
	v_dual_mov_b32 v14, v2 :: v_dual_mov_b32 v13, v1
	s_delay_alu instid0(VALU_DEP_2)
	v_div_fixup_f32 v15, v17, v15, v16
	v_mov_b32_e32 v16, v0
.LBB8_108:                              ;   Parent Loop BB8_12 Depth=1
                                        ;     Parent Loop BB8_23 Depth=2
                                        ;       Parent Loop BB8_71 Depth=3
                                        ; =>      This Inner Loop Header: Depth=4
	global_load_b32 v17, v[13:14], off
	s_waitcnt vmcnt(0)
	v_dual_mul_f32 v17, v15, v17 :: v_dual_add_nc_u32 v16, 0x100, v16
	s_delay_alu instid0(VALU_DEP_1) | instskip(SKIP_2) | instid1(VALU_DEP_1)
	v_cmp_lt_i32_e32 vcc_lo, s58, v16
	global_store_b32 v[13:14], v17, off
	v_add_co_u32 v13, s7, 0x400, v13
	v_add_co_ci_u32_e64 v14, s7, 0, v14, s7
	s_or_b32 s9, vcc_lo, s9
	s_delay_alu instid0(SALU_CYCLE_1)
	s_and_not1_b32 exec_lo, exec_lo, s9
	s_cbranch_execnz .LBB8_108
.LBB8_109:                              ;   in Loop: Header=BB8_71 Depth=3
	s_or_b32 exec_lo, exec_lo, s8
	s_waitcnt_vscnt null, 0x0
	s_barrier
	buffer_gl0_inv
	s_and_saveexec_b32 s35, s2
	s_cbranch_execz .LBB8_136
; %bb.110:                              ;   in Loop: Header=BB8_71 Depth=3
	s_clause 0x1
	global_load_b64 v[13:14], v21, s[20:21]
	global_load_b32 v15, v21, s[42:43]
	s_and_not1_b32 vcc_lo, exec_lo, vcc_hi
	s_mov_b64 s[8:9], s[28:29]
	s_mov_b64 s[70:71], s[46:47]
	;; [unrolled: 1-line block ×3, first 2 shown]
	s_mov_b32 s7, s59
	s_waitcnt vmcnt(0)
	v_max3_f32 v15, |v13|, |v14|, |v15|
	s_cbranch_vccnz .LBB8_112
	.p2align	6
.LBB8_111:                              ;   Parent Loop BB8_12 Depth=1
                                        ;     Parent Loop BB8_23 Depth=2
                                        ;       Parent Loop BB8_71 Depth=3
                                        ; =>      This Inner Loop Header: Depth=4
	s_clause 0x2
	global_load_b32 v13, v21, s[72:73]
	global_load_b32 v14, v21, s[8:9]
	global_load_b32 v16, v21, s[70:71]
	s_add_i32 s7, s7, -1
	s_add_u32 s72, s72, 4
	s_addc_u32 s73, s73, 0
	s_add_u32 s70, s70, 4
	s_addc_u32 s71, s71, 0
	s_add_u32 s8, s8, 4
	s_addc_u32 s9, s9, 0
	s_cmp_lg_u32 s7, 0
	s_waitcnt vmcnt(2)
	v_max_f32_e64 v13, |v13|, |v13|
	s_waitcnt vmcnt(1)
	v_max_f32_e64 v14, |v14|, |v14|
	s_delay_alu instid0(VALU_DEP_1) | instskip(SKIP_1) | instid1(VALU_DEP_1)
	v_max_f32_e32 v13, v14, v13
	s_waitcnt vmcnt(0)
	v_max3_f32 v15, v15, |v16|, v13
	s_cbranch_scc1 .LBB8_111
.LBB8_112:                              ;   in Loop: Header=BB8_71 Depth=3
	s_mov_b32 s8, 1
	s_mov_b64 s[70:71], 0
	s_mov_b32 s7, s58
	s_branch .LBB8_114
.LBB8_113:                              ;   in Loop: Header=BB8_114 Depth=4
	s_add_u32 s74, s74, s70
	s_addc_u32 s75, s75, s71
	s_add_i32 s8, s8, 1
	global_load_b32 v16, v21, s[74:75]
	s_add_u32 s70, s70, 4
	s_addc_u32 s71, s71, 0
	s_add_i32 s7, s7, -1
	s_delay_alu instid0(SALU_CYCLE_1)
	s_cmp_lg_u32 s7, 0
	s_waitcnt vmcnt(0)
	v_fma_f32 v13, -v14, v16, v13
	global_store_b32 v21, v13, s[72:73]
	s_cbranch_scc0 .LBB8_118
.LBB8_114:                              ;   Parent Loop BB8_12 Depth=1
                                        ;     Parent Loop BB8_23 Depth=2
                                        ;       Parent Loop BB8_71 Depth=3
                                        ; =>      This Inner Loop Header: Depth=4
	s_add_u32 s72, s86, s70
	s_addc_u32 s73, s87, s71
	global_load_b32 v13, v21, s[72:73]
	s_waitcnt vmcnt(0)
	v_cmp_ne_u32_e32 vcc_lo, 0, v13
	s_cbranch_vccz .LBB8_116
; %bb.115:                              ;   in Loop: Header=BB8_114 Depth=4
	s_add_u32 s74, s101, s70
	s_addc_u32 s75, s102, s71
	s_mov_b32 s9, 0
	global_load_b64 v[13:14], v21, s[74:75] offset:-4
	s_lshl_b64 s[72:73], s[8:9], 2
	s_delay_alu instid0(SALU_CYCLE_1)
	s_add_u32 s72, s14, s72
	s_addc_u32 s73, s15, s73
	s_waitcnt vmcnt(0)
	global_store_b32 v21, v14, s[74:75] offset:-4
	s_mov_b64 s[74:75], s[38:39]
	s_cbranch_execnz .LBB8_113
	s_branch .LBB8_117
.LBB8_116:                              ;   in Loop: Header=BB8_114 Depth=4
                                        ; implicit-def: $sgpr72_sgpr73
                                        ; implicit-def: $vgpr13
	s_mov_b64 s[74:75], s[38:39]
.LBB8_117:                              ;   in Loop: Header=BB8_114 Depth=4
	s_add_u32 s72, s101, s70
	s_addc_u32 s73, s102, s71
	s_add_u32 s74, s38, s70
	s_addc_u32 s75, s39, s71
	s_clause 0x1
	global_load_b32 v13, v21, s[72:73]
	global_load_b32 v14, v21, s[74:75]
	s_mov_b64 s[74:75], s[14:15]
	s_branch .LBB8_113
.LBB8_118:                              ;   in Loop: Header=BB8_71 Depth=3
	v_mul_f32_e32 v13, s36, v15
	s_mov_b32 s22, s58
	s_delay_alu instid0(VALU_DEP_1) | instskip(SKIP_1) | instid1(VALU_DEP_1)
	v_cmp_eq_f32_e32 vcc_lo, 0, v13
	v_cndmask_b32_e64 v13, v13, s36, vcc_lo
	v_and_b32_e32 v14, 0x7fffffff, v13
	s_branch .LBB8_121
.LBB8_119:                              ;   in Loop: Header=BB8_121 Depth=4
	s_delay_alu instid0(VALU_DEP_1)
	v_mov_b32_e32 v16, v20
.LBB8_120:                              ;   in Loop: Header=BB8_121 Depth=4
	s_delay_alu instid0(VALU_DEP_1) | instskip(SKIP_3) | instid1(VALU_DEP_1)
	v_div_scale_f32 v17, null, v16, v16, v15
	s_add_i32 s7, s22, -1
	s_cmp_gt_i32 s22, 0
	s_mov_b32 s22, s7
	v_rcp_f32_e32 v18, v17
	s_waitcnt_depctr 0xfff
	v_fma_f32 v19, -v17, v18, 1.0
	s_delay_alu instid0(VALU_DEP_1) | instskip(SKIP_1) | instid1(VALU_DEP_1)
	v_fmac_f32_e32 v18, v19, v18
	v_div_scale_f32 v19, vcc_lo, v15, v16, v15
	v_mul_f32_e32 v20, v19, v18
	s_delay_alu instid0(VALU_DEP_1) | instskip(NEXT) | instid1(VALU_DEP_1)
	v_fma_f32 v35, -v17, v20, v19
	v_fmac_f32_e32 v20, v35, v18
	s_delay_alu instid0(VALU_DEP_1) | instskip(NEXT) | instid1(VALU_DEP_1)
	v_fma_f32 v17, -v17, v20, v19
	v_div_fmas_f32 v17, v17, v18, v20
	s_delay_alu instid0(VALU_DEP_1)
	v_div_fixup_f32 v15, v17, v16, v15
	global_store_b32 v21, v15, s[8:9]
	s_cbranch_scc0 .LBB8_136
.LBB8_121:                              ;   Parent Loop BB8_12 Depth=1
                                        ;     Parent Loop BB8_23 Depth=2
                                        ;       Parent Loop BB8_71 Depth=3
                                        ; =>      This Loop Header: Depth=4
                                        ;           Child Loop BB8_128 Depth 5
	s_lshl_b64 s[70:71], s[22:23], 2
	s_delay_alu instid0(SALU_CYCLE_1)
	s_add_u32 s8, s14, s70
	s_addc_u32 s9, s15, s71
	s_cmp_ge_i32 s22, s58
	global_load_b32 v15, v21, s[8:9]
	s_cbranch_scc1 .LBB8_123
; %bb.122:                              ;   in Loop: Header=BB8_121 Depth=4
	s_add_u32 s72, s42, s70
	s_addc_u32 s73, s43, s71
	s_clause 0x1
	global_load_b32 v16, v21, s[72:73]
	global_load_b32 v17, v21, s[8:9] offset:4
	s_waitcnt vmcnt(0)
	v_fma_f32 v15, -v16, v17, v15
.LBB8_123:                              ;   in Loop: Header=BB8_121 Depth=4
	s_cmp_ge_i32 s22, s59
	s_cbranch_scc1 .LBB8_125
; %bb.124:                              ;   in Loop: Header=BB8_121 Depth=4
	s_add_u32 s72, s40, s70
	s_addc_u32 s73, s41, s71
	s_clause 0x1
	global_load_b32 v16, v21, s[72:73]
	global_load_b32 v17, v21, s[8:9] offset:8
	s_waitcnt vmcnt(0)
	v_fma_f32 v15, -v16, v17, v15
.LBB8_125:                              ;   in Loop: Header=BB8_121 Depth=4
	s_add_u32 s70, s20, s70
	s_addc_u32 s71, s21, s71
	global_load_b32 v16, v21, s[70:71]
	s_waitcnt vmcnt(0)
	v_cmp_nlt_f32_e64 s7, |v16|, 1.0
	s_delay_alu instid0(VALU_DEP_1)
	s_and_b32 vcc_lo, exec_lo, s7
	s_cbranch_vccnz .LBB8_120
; %bb.126:                              ;   in Loop: Header=BB8_121 Depth=4
	v_cmp_nle_f32_e32 vcc_lo, 0, v16
	v_and_b32_e32 v19, 0x7fffffff, v16
	v_mul_f32_e64 v17, |v15|, s37
	v_cndmask_b32_e64 v18, |v13|, -v14, vcc_lo
	s_branch .LBB8_128
	.p2align	6
.LBB8_127:                              ;   in Loop: Header=BB8_128 Depth=5
	v_add_f32_e32 v20, v16, v18
	v_dual_add_f32 v18, v18, v18 :: v_dual_mov_b32 v35, v16
	s_mov_b32 s7, -1
	s_delay_alu instid0(VALU_DEP_2) | instskip(SKIP_2) | instid1(VALU_DEP_2)
	v_and_b32_e32 v19, 0x7fffffff, v20
	v_cmp_nlt_f32_e64 s70, |v20|, 1.0
	v_mov_b32_e32 v16, v20
	s_and_not1_b32 vcc_lo, exec_lo, s70
	s_cbranch_vccz .LBB8_134
.LBB8_128:                              ;   Parent Loop BB8_12 Depth=1
                                        ;     Parent Loop BB8_23 Depth=2
                                        ;       Parent Loop BB8_71 Depth=3
                                        ;         Parent Loop BB8_121 Depth=4
                                        ; =>        This Inner Loop Header: Depth=5
	s_delay_alu instid0(VALU_DEP_3)
	v_cmp_ngt_f32_e32 vcc_lo, s37, v19
	s_cbranch_vccz .LBB8_130
; %bb.129:                              ;   in Loop: Header=BB8_128 Depth=5
	v_mul_f32_e32 v20, v25, v19
	s_mov_b32 s7, -1
	s_delay_alu instid0(VALU_DEP_1)
	v_cmp_gt_f32_e64 s70, |v15|, v20
	v_mov_b32_e32 v20, v16
	v_mov_b32_e32 v35, v16
	s_cbranch_execz .LBB8_131
	s_branch .LBB8_132
.LBB8_130:                              ;   in Loop: Header=BB8_128 Depth=5
	s_mov_b32 s70, 0
                                        ; implicit-def: $sgpr7
	v_mov_b32_e32 v20, v16
	v_mov_b32_e32 v35, v16
.LBB8_131:                              ;   in Loop: Header=BB8_128 Depth=5
	v_cmp_eq_f32_e32 vcc_lo, 0, v16
	v_cmp_gt_f32_e64 s7, v17, v19
	v_mov_b32_e32 v35, v16
                                        ; implicit-def: $vgpr20
	s_delay_alu instid0(VALU_DEP_2)
	s_or_b32 s70, vcc_lo, s7
	s_mov_b32 s7, 0
.LBB8_132:                              ;   in Loop: Header=BB8_128 Depth=5
	s_and_not1_b32 vcc_lo, exec_lo, s70
	s_cbranch_vccz .LBB8_127
; %bb.133:                              ;   in Loop: Header=BB8_121 Depth=4
                                        ; implicit-def: $vgpr18
                                        ; implicit-def: $vgpr19
	v_mov_b32_e32 v16, v20
.LBB8_134:                              ;   in Loop: Header=BB8_121 Depth=4
	s_and_not1_b32 vcc_lo, exec_lo, s7
	s_cbranch_vccz .LBB8_119
; %bb.135:                              ;   in Loop: Header=BB8_121 Depth=4
	v_mul_f32_e32 v15, v25, v15
	v_mul_f32_e32 v20, v25, v35
	s_branch .LBB8_119
.LBB8_136:                              ;   in Loop: Header=BB8_71 Depth=3
	s_or_b32 exec_lo, exec_lo, s35
	s_delay_alu instid0(SALU_CYCLE_1)
	s_and_not1_b32 vcc_lo, exec_lo, s69
	s_waitcnt_vscnt null, 0x0
	s_barrier
	buffer_gl0_inv
	s_cbranch_vccnz .LBB8_146
; %bb.137:                              ;   in Loop: Header=BB8_71 Depth=3
	s_and_b32 s7, s76, exec_lo
	s_cselect_b32 s7, s68, s104
	s_mov_b32 s104, s68
	s_cmp_eq_u32 s7, s68
	s_cbranch_scc1 .LBB8_146
; %bb.138:                              ;   in Loop: Header=BB8_71 Depth=3
	s_cmp_lt_i32 s7, s68
	s_cselect_b32 s8, -1, 0
	s_delay_alu instid0(SALU_CYCLE_1) | instskip(NEXT) | instid1(SALU_CYCLE_1)
	s_and_b32 s8, s2, s8
	s_and_saveexec_b32 s22, s8
	s_cbranch_execz .LBB8_145
; %bb.139:                              ;   in Loop: Header=BB8_71 Depth=3
	s_mul_i32 s8, s11, s7
	s_mov_b32 s72, s7
	s_add_i32 s35, s54, s8
	s_set_inst_prefetch_distance 0x1
	.p2align	6
.LBB8_140:                              ;   Parent Loop BB8_12 Depth=1
                                        ;     Parent Loop BB8_23 Depth=2
                                        ;       Parent Loop BB8_71 Depth=3
                                        ; =>      This Loop Header: Depth=4
                                        ;           Child Loop BB8_141 Depth 5
                                        ;           Child Loop BB8_143 Depth 5
	v_mov_b32_e32 v13, 0
	s_mov_b64 s[8:9], s[14:15]
	s_mov_b32 s70, s35
	s_mov_b32 s73, s26
.LBB8_141:                              ;   Parent Loop BB8_12 Depth=1
                                        ;     Parent Loop BB8_23 Depth=2
                                        ;       Parent Loop BB8_71 Depth=3
                                        ;         Parent Loop BB8_140 Depth=4
                                        ; =>        This Inner Loop Header: Depth=5
	s_ashr_i32 s71, s70, 31
	s_delay_alu instid0(SALU_CYCLE_1) | instskip(NEXT) | instid1(SALU_CYCLE_1)
	s_lshl_b64 s[74:75], s[70:71], 2
	s_add_u32 s74, s10, s74
	s_addc_u32 s75, s88, s75
	s_clause 0x1
	global_load_b32 v14, v21, s[8:9]
	global_load_b32 v15, v21, s[74:75]
	s_add_i32 s73, s73, -1
	s_add_i32 s70, s70, 1
	s_add_u32 s8, s8, 4
	s_addc_u32 s9, s9, 0
	s_cmp_lg_u32 s73, 0
	s_waitcnt vmcnt(0)
	v_fmac_f32_e32 v13, v14, v15
	s_cbranch_scc1 .LBB8_141
; %bb.142:                              ;   in Loop: Header=BB8_140 Depth=4
	s_mov_b32 s70, 0
	s_mov_b64 s[8:9], s[14:15]
	.p2align	6
.LBB8_143:                              ;   Parent Loop BB8_12 Depth=1
                                        ;     Parent Loop BB8_23 Depth=2
                                        ;       Parent Loop BB8_71 Depth=3
                                        ;         Parent Loop BB8_140 Depth=4
                                        ; =>        This Inner Loop Header: Depth=5
	s_add_i32 s74, s35, s70
	global_load_b32 v14, v21, s[8:9]
	s_ashr_i32 s75, s74, 31
	s_delay_alu instid0(SALU_CYCLE_1) | instskip(NEXT) | instid1(SALU_CYCLE_1)
	s_lshl_b64 s[74:75], s[74:75], 2
	s_add_u32 s74, s10, s74
	s_addc_u32 s75, s88, s75
	s_add_i32 s70, s70, 1
	global_load_b32 v15, v21, s[74:75]
	s_waitcnt vmcnt(0)
	v_fma_f32 v14, -v13, v15, v14
	global_store_b32 v21, v14, s[8:9]
	s_add_u32 s8, s8, 4
	s_addc_u32 s9, s9, 0
	s_cmp_lg_u32 s26, s70
	s_cbranch_scc1 .LBB8_143
; %bb.144:                              ;   in Loop: Header=BB8_140 Depth=4
	s_add_i32 s72, s72, 1
	s_add_i32 s35, s35, s11
	s_cmp_lt_i32 s72, s68
	s_cbranch_scc1 .LBB8_140
.LBB8_145:                              ;   in Loop: Header=BB8_71 Depth=3
	s_set_inst_prefetch_distance 0x2
	s_or_b32 exec_lo, exec_lo, s22
	s_mov_b32 s104, s7
	s_waitcnt_vscnt null, 0x0
	s_barrier
	buffer_gl0_inv
.LBB8_146:                              ;   in Loop: Header=BB8_71 Depth=3
	v_bfrev_b32_e32 v16, -2
	v_mov_b32_e32 v15, 0
	s_and_saveexec_b32 s8, s5
	s_cbranch_execz .LBB8_150
; %bb.147:                              ;   in Loop: Header=BB8_71 Depth=3
	v_dual_mov_b32 v15, 0 :: v_dual_mov_b32 v14, v2
	v_bfrev_b32_e32 v16, -2
	v_mov_b32_e32 v13, v1
	v_mov_b32_e32 v17, v0
	s_mov_b32 s9, 0
	.p2align	6
.LBB8_148:                              ;   Parent Loop BB8_12 Depth=1
                                        ;     Parent Loop BB8_23 Depth=2
                                        ;       Parent Loop BB8_71 Depth=3
                                        ; =>      This Inner Loop Header: Depth=4
	global_load_b32 v18, v[13:14], off
	v_cmp_eq_u32_e32 vcc_lo, 0x7fffffff, v16
	v_add_nc_u32_e32 v19, 1, v17
	v_add_co_u32 v13, s7, 0x400, v13
	s_delay_alu instid0(VALU_DEP_1) | instskip(SKIP_2) | instid1(VALU_DEP_1)
	v_add_co_ci_u32_e64 v14, s7, 0, v14, s7
	s_waitcnt vmcnt(0)
	v_cmp_lt_f32_e64 s22, v15, |v18|
	s_or_b32 vcc_lo, s22, vcc_lo
	v_dual_cndmask_b32 v16, v16, v19 :: v_dual_add_nc_u32 v17, 0x100, v17
	v_cndmask_b32_e64 v15, v15, |v18|, vcc_lo
	s_delay_alu instid0(VALU_DEP_2) | instskip(NEXT) | instid1(VALU_DEP_1)
	v_cmp_lt_i32_e64 s7, s58, v17
	s_or_b32 s9, s7, s9
	s_delay_alu instid0(SALU_CYCLE_1)
	s_and_not1_b32 exec_lo, exec_lo, s9
	s_cbranch_execnz .LBB8_148
; %bb.149:                              ;   in Loop: Header=BB8_71 Depth=3
	s_or_b32 exec_lo, exec_lo, s9
.LBB8_150:                              ;   in Loop: Header=BB8_71 Depth=3
	s_delay_alu instid0(SALU_CYCLE_1)
	s_or_b32 exec_lo, exec_lo, s8
	ds_store_2addr_stride64_b32 v23, v15, v16 offset1:8
	s_waitcnt lgkmcnt(0)
	s_barrier
	buffer_gl0_inv
	s_and_saveexec_b32 s8, s0
	s_cbranch_execz .LBB8_156
; %bb.151:                              ;   in Loop: Header=BB8_71 Depth=3
	ds_load_b32 v13, v23 offset:512
	ds_load_b32 v14, v24 offset:512
	s_mov_b32 s22, exec_lo
	s_waitcnt lgkmcnt(1)
	v_cmp_lt_f32_e64 s9, v15, v13
	v_cmpx_nlt_f32_e32 v15, v13
	s_cbranch_execz .LBB8_153
; %bb.152:                              ;   in Loop: Header=BB8_71 Depth=3
	v_cmp_eq_f32_e32 vcc_lo, v15, v13
	s_waitcnt lgkmcnt(0)
	v_cmp_gt_i32_e64 s7, v16, v14
	s_and_not1_b32 s9, s9, exec_lo
	s_delay_alu instid0(VALU_DEP_1) | instskip(NEXT) | instid1(SALU_CYCLE_1)
	s_and_b32 s7, vcc_lo, s7
	s_and_b32 s7, s7, exec_lo
	s_delay_alu instid0(SALU_CYCLE_1)
	s_or_b32 s9, s9, s7
.LBB8_153:                              ;   in Loop: Header=BB8_71 Depth=3
	s_or_b32 exec_lo, exec_lo, s22
	s_delay_alu instid0(VALU_DEP_2)
	s_and_saveexec_b32 s7, s9
	s_cbranch_execz .LBB8_155
; %bb.154:                              ;   in Loop: Header=BB8_71 Depth=3
	s_waitcnt lgkmcnt(0)
	v_dual_mov_b32 v16, v14 :: v_dual_mov_b32 v15, v13
	ds_store_2addr_stride64_b32 v23, v13, v14 offset1:8
.LBB8_155:                              ;   in Loop: Header=BB8_71 Depth=3
	s_or_b32 exec_lo, exec_lo, s7
.LBB8_156:                              ;   in Loop: Header=BB8_71 Depth=3
	s_delay_alu instid0(SALU_CYCLE_1)
	s_or_b32 exec_lo, exec_lo, s8
	s_waitcnt lgkmcnt(0)
	s_barrier
	buffer_gl0_inv
	s_and_saveexec_b32 s8, s1
	s_cbranch_execz .LBB8_162
; %bb.157:                              ;   in Loop: Header=BB8_71 Depth=3
	ds_load_b32 v13, v23 offset:256
	ds_load_b32 v14, v24 offset:256
	s_mov_b32 s22, exec_lo
	s_waitcnt lgkmcnt(1)
	v_cmp_lt_f32_e64 s9, v15, v13
	v_cmpx_nlt_f32_e32 v15, v13
	s_cbranch_execz .LBB8_159
; %bb.158:                              ;   in Loop: Header=BB8_71 Depth=3
	v_cmp_eq_f32_e32 vcc_lo, v15, v13
	s_waitcnt lgkmcnt(0)
	v_cmp_gt_i32_e64 s7, v16, v14
	s_and_not1_b32 s9, s9, exec_lo
	s_delay_alu instid0(VALU_DEP_1) | instskip(NEXT) | instid1(SALU_CYCLE_1)
	s_and_b32 s7, vcc_lo, s7
	s_and_b32 s7, s7, exec_lo
	s_delay_alu instid0(SALU_CYCLE_1)
	s_or_b32 s9, s9, s7
.LBB8_159:                              ;   in Loop: Header=BB8_71 Depth=3
	s_or_b32 exec_lo, exec_lo, s22
	s_delay_alu instid0(VALU_DEP_2)
	s_and_saveexec_b32 s7, s9
	s_cbranch_execz .LBB8_161
; %bb.160:                              ;   in Loop: Header=BB8_71 Depth=3
	s_waitcnt lgkmcnt(0)
	v_dual_mov_b32 v16, v14 :: v_dual_mov_b32 v15, v13
	ds_store_2addr_stride64_b32 v23, v13, v14 offset1:8
.LBB8_161:                              ;   in Loop: Header=BB8_71 Depth=3
	s_or_b32 exec_lo, exec_lo, s7
.LBB8_162:                              ;   in Loop: Header=BB8_71 Depth=3
	s_delay_alu instid0(SALU_CYCLE_1)
	s_or_b32 exec_lo, exec_lo, s8
	s_waitcnt lgkmcnt(0)
	s_barrier
	buffer_gl0_inv
	s_and_saveexec_b32 s9, s3
	s_cbranch_execz .LBB8_185
; %bb.163:                              ;   in Loop: Header=BB8_71 Depth=3
	ds_load_b32 v13, v23 offset:128
	ds_load_b32 v14, v24 offset:128
	s_mov_b32 s22, exec_lo
	s_waitcnt lgkmcnt(1)
	v_cmp_lt_f32_e64 s8, v15, v13
	v_cmpx_nlt_f32_e32 v15, v13
	s_cbranch_execz .LBB8_165
; %bb.164:                              ;   in Loop: Header=BB8_71 Depth=3
	v_cmp_eq_f32_e32 vcc_lo, v15, v13
	s_waitcnt lgkmcnt(0)
	v_cmp_gt_i32_e64 s7, v16, v14
	s_and_not1_b32 s8, s8, exec_lo
	s_delay_alu instid0(VALU_DEP_1) | instskip(NEXT) | instid1(SALU_CYCLE_1)
	s_and_b32 s7, vcc_lo, s7
	s_and_b32 s7, s7, exec_lo
	s_delay_alu instid0(SALU_CYCLE_1)
	s_or_b32 s8, s8, s7
.LBB8_165:                              ;   in Loop: Header=BB8_71 Depth=3
	s_or_b32 exec_lo, exec_lo, s22
	s_delay_alu instid0(VALU_DEP_2)
	s_and_saveexec_b32 s7, s8
	s_cbranch_execz .LBB8_167
; %bb.166:                              ;   in Loop: Header=BB8_71 Depth=3
	s_waitcnt lgkmcnt(0)
	v_dual_mov_b32 v15, v13 :: v_dual_mov_b32 v16, v14
	ds_store_2addr_stride64_b32 v23, v13, v14 offset1:8
.LBB8_167:                              ;   in Loop: Header=BB8_71 Depth=3
	s_or_b32 exec_lo, exec_lo, s7
	ds_load_b32 v13, v23 offset:64
	s_waitcnt lgkmcnt(1)
	ds_load_b32 v14, v24 offset:64
	s_mov_b32 s22, exec_lo
	s_waitcnt lgkmcnt(1)
	v_cmp_lt_f32_e64 s8, v15, v13
	v_cmpx_nlt_f32_e32 v15, v13
	s_cbranch_execz .LBB8_169
; %bb.168:                              ;   in Loop: Header=BB8_71 Depth=3
	v_cmp_eq_f32_e32 vcc_lo, v15, v13
	s_waitcnt lgkmcnt(0)
	v_cmp_gt_i32_e64 s7, v16, v14
	s_and_not1_b32 s8, s8, exec_lo
	s_delay_alu instid0(VALU_DEP_1) | instskip(NEXT) | instid1(SALU_CYCLE_1)
	s_and_b32 s7, vcc_lo, s7
	s_and_b32 s7, s7, exec_lo
	s_delay_alu instid0(SALU_CYCLE_1)
	s_or_b32 s8, s8, s7
.LBB8_169:                              ;   in Loop: Header=BB8_71 Depth=3
	s_or_b32 exec_lo, exec_lo, s22
	s_delay_alu instid0(VALU_DEP_2)
	s_and_saveexec_b32 s7, s8
	s_cbranch_execz .LBB8_171
; %bb.170:                              ;   in Loop: Header=BB8_71 Depth=3
	s_waitcnt lgkmcnt(0)
	v_dual_mov_b32 v15, v13 :: v_dual_mov_b32 v16, v14
	ds_store_2addr_stride64_b32 v23, v13, v14 offset1:8
.LBB8_171:                              ;   in Loop: Header=BB8_71 Depth=3
	s_or_b32 exec_lo, exec_lo, s7
	ds_load_b32 v13, v23 offset:32
	s_waitcnt lgkmcnt(1)
	;; [unrolled: 29-line block ×5, first 2 shown]
	ds_load_b32 v14, v24 offset:4
	s_waitcnt lgkmcnt(1)
	v_cmp_eq_f32_e32 vcc_lo, v15, v13
	s_waitcnt lgkmcnt(0)
	v_cmp_gt_i32_e64 s7, v16, v14
	v_cmp_lt_f32_e64 s8, v15, v13
	s_delay_alu instid0(VALU_DEP_2)
	s_and_b32 s7, vcc_lo, s7
	s_delay_alu instid0(VALU_DEP_1) | instid1(SALU_CYCLE_1)
	s_or_b32 s7, s8, s7
	s_delay_alu instid0(SALU_CYCLE_1)
	s_and_b32 exec_lo, exec_lo, s7
	s_cbranch_execz .LBB8_185
; %bb.184:                              ;   in Loop: Header=BB8_71 Depth=3
	ds_store_2addr_stride64_b32 v23, v13, v14 offset1:8
.LBB8_185:                              ;   in Loop: Header=BB8_71 Depth=3
	s_or_b32 exec_lo, exec_lo, s9
	s_waitcnt lgkmcnt(0)
	s_barrier
	buffer_gl0_inv
	ds_load_b32 v13, v28
	s_waitcnt lgkmcnt(0)
	v_cmp_ge_f32_e32 vcc_lo, v13, v32
	s_cmp_lg_u32 vcc_lo, 0
	s_addc_u32 s77, s77, 0
	s_add_i32 s7, s34, 1
	s_cmp_lt_u32 s34, 4
	s_cselect_b32 s9, -1, 0
	s_cmp_lt_u32 s77, 2
	s_cselect_b32 s8, -1, 0
	s_delay_alu instid0(SALU_CYCLE_1) | instskip(NEXT) | instid1(SALU_CYCLE_1)
	s_and_b32 s9, s9, s8
	s_and_b32 vcc_lo, exec_lo, s9
	s_cbranch_vccz .LBB8_187
; %bb.186:                              ;   in Loop: Header=BB8_71 Depth=3
	s_mov_b32 s34, s7
	v_bfrev_b32_e32 v16, -2
	v_mov_b32_e32 v15, 0
	s_and_saveexec_b32 s8, s5
	s_cbranch_execnz .LBB8_68
	s_branch .LBB8_71
.LBB8_187:                              ;   in Loop: Header=BB8_23 Depth=2
	s_and_b32 s8, s25, s8
	s_delay_alu instid0(SALU_CYCLE_1)
	s_and_saveexec_b32 s7, s8
	s_cbranch_execz .LBB8_189
; %bb.188:                              ;   in Loop: Header=BB8_23 Depth=2
	ds_load_b32 v13, v21
	s_add_i32 s8, s68, 1
	s_delay_alu instid0(SALU_CYCLE_1) | instskip(SKIP_2) | instid1(VALU_DEP_1)
	v_mov_b32_e32 v16, s8
	s_waitcnt lgkmcnt(0)
	v_ashrrev_i32_e32 v14, 31, v13
	v_lshlrev_b64 v[14:15], 2, v[13:14]
	v_add_nc_u32_e32 v13, 1, v13
	s_delay_alu instid0(VALU_DEP_2) | instskip(NEXT) | instid1(VALU_DEP_3)
	v_add_co_u32 v14, vcc_lo, s44, v14
	v_add_co_ci_u32_e32 v15, vcc_lo, s45, v15, vcc_lo
	flat_store_b32 v[14:15], v16
	ds_store_b32 v21, v13
.LBB8_189:                              ;   in Loop: Header=BB8_23 Depth=2
	s_or_b32 exec_lo, exec_lo, s7
	v_bfrev_b32_e32 v16, -2
	v_mov_b32_e32 v15, 0
	s_and_saveexec_b32 s8, s5
	s_cbranch_execz .LBB8_193
; %bb.190:                              ;   in Loop: Header=BB8_23 Depth=2
	v_dual_mov_b32 v15, 0 :: v_dual_mov_b32 v14, v2
	v_bfrev_b32_e32 v16, -2
	v_mov_b32_e32 v13, v1
	v_mov_b32_e32 v17, v0
	s_mov_b32 s9, 0
	.p2align	6
.LBB8_191:                              ;   Parent Loop BB8_12 Depth=1
                                        ;     Parent Loop BB8_23 Depth=2
                                        ; =>    This Inner Loop Header: Depth=3
	global_load_b32 v18, v[13:14], off
	v_cmp_eq_u32_e32 vcc_lo, 0x7fffffff, v16
	v_add_nc_u32_e32 v19, 1, v17
	v_add_co_u32 v13, s7, 0x400, v13
	s_delay_alu instid0(VALU_DEP_1) | instskip(SKIP_2) | instid1(VALU_DEP_1)
	v_add_co_ci_u32_e64 v14, s7, 0, v14, s7
	s_waitcnt vmcnt(0)
	v_cmp_lt_f32_e64 s22, v15, |v18|
	s_or_b32 vcc_lo, s22, vcc_lo
	v_dual_cndmask_b32 v16, v16, v19 :: v_dual_add_nc_u32 v17, 0x100, v17
	v_cndmask_b32_e64 v15, v15, |v18|, vcc_lo
	s_delay_alu instid0(VALU_DEP_2) | instskip(NEXT) | instid1(VALU_DEP_1)
	v_cmp_lt_i32_e64 s7, s58, v17
	s_or_b32 s9, s7, s9
	s_delay_alu instid0(SALU_CYCLE_1)
	s_and_not1_b32 exec_lo, exec_lo, s9
	s_cbranch_execnz .LBB8_191
; %bb.192:                              ;   in Loop: Header=BB8_23 Depth=2
	s_or_b32 exec_lo, exec_lo, s9
.LBB8_193:                              ;   in Loop: Header=BB8_23 Depth=2
	s_delay_alu instid0(SALU_CYCLE_1)
	s_or_b32 exec_lo, exec_lo, s8
	ds_store_2addr_stride64_b32 v23, v15, v16 offset1:8
	s_waitcnt lgkmcnt(0)
	s_waitcnt_vscnt null, 0x0
	s_barrier
	buffer_gl0_inv
	s_and_saveexec_b32 s8, s0
	s_cbranch_execz .LBB8_199
; %bb.194:                              ;   in Loop: Header=BB8_23 Depth=2
	ds_load_b32 v13, v23 offset:512
	ds_load_b32 v14, v24 offset:512
	s_mov_b32 s22, exec_lo
	s_waitcnt lgkmcnt(1)
	v_cmp_lt_f32_e64 s9, v15, v13
	v_cmpx_nlt_f32_e32 v15, v13
	s_cbranch_execz .LBB8_196
; %bb.195:                              ;   in Loop: Header=BB8_23 Depth=2
	v_cmp_eq_f32_e32 vcc_lo, v15, v13
	s_waitcnt lgkmcnt(0)
	v_cmp_gt_i32_e64 s7, v16, v14
	s_and_not1_b32 s9, s9, exec_lo
	s_delay_alu instid0(VALU_DEP_1) | instskip(NEXT) | instid1(SALU_CYCLE_1)
	s_and_b32 s7, vcc_lo, s7
	s_and_b32 s7, s7, exec_lo
	s_delay_alu instid0(SALU_CYCLE_1)
	s_or_b32 s9, s9, s7
.LBB8_196:                              ;   in Loop: Header=BB8_23 Depth=2
	s_or_b32 exec_lo, exec_lo, s22
	s_delay_alu instid0(VALU_DEP_2)
	s_and_saveexec_b32 s7, s9
	s_cbranch_execz .LBB8_198
; %bb.197:                              ;   in Loop: Header=BB8_23 Depth=2
	s_waitcnt lgkmcnt(0)
	v_dual_mov_b32 v16, v14 :: v_dual_mov_b32 v15, v13
	ds_store_2addr_stride64_b32 v23, v13, v14 offset1:8
.LBB8_198:                              ;   in Loop: Header=BB8_23 Depth=2
	s_or_b32 exec_lo, exec_lo, s7
.LBB8_199:                              ;   in Loop: Header=BB8_23 Depth=2
	s_delay_alu instid0(SALU_CYCLE_1)
	s_or_b32 exec_lo, exec_lo, s8
	s_waitcnt lgkmcnt(0)
	s_barrier
	buffer_gl0_inv
	s_and_saveexec_b32 s8, s1
	s_cbranch_execz .LBB8_205
; %bb.200:                              ;   in Loop: Header=BB8_23 Depth=2
	ds_load_b32 v13, v23 offset:256
	ds_load_b32 v14, v24 offset:256
	s_mov_b32 s22, exec_lo
	s_waitcnt lgkmcnt(1)
	v_cmp_lt_f32_e64 s9, v15, v13
	v_cmpx_nlt_f32_e32 v15, v13
	s_cbranch_execz .LBB8_202
; %bb.201:                              ;   in Loop: Header=BB8_23 Depth=2
	v_cmp_eq_f32_e32 vcc_lo, v15, v13
	s_waitcnt lgkmcnt(0)
	v_cmp_gt_i32_e64 s7, v16, v14
	s_and_not1_b32 s9, s9, exec_lo
	s_delay_alu instid0(VALU_DEP_1) | instskip(NEXT) | instid1(SALU_CYCLE_1)
	s_and_b32 s7, vcc_lo, s7
	s_and_b32 s7, s7, exec_lo
	s_delay_alu instid0(SALU_CYCLE_1)
	s_or_b32 s9, s9, s7
.LBB8_202:                              ;   in Loop: Header=BB8_23 Depth=2
	s_or_b32 exec_lo, exec_lo, s22
	s_delay_alu instid0(VALU_DEP_2)
	s_and_saveexec_b32 s7, s9
	s_cbranch_execz .LBB8_204
; %bb.203:                              ;   in Loop: Header=BB8_23 Depth=2
	s_waitcnt lgkmcnt(0)
	v_dual_mov_b32 v16, v14 :: v_dual_mov_b32 v15, v13
	ds_store_2addr_stride64_b32 v23, v13, v14 offset1:8
.LBB8_204:                              ;   in Loop: Header=BB8_23 Depth=2
	s_or_b32 exec_lo, exec_lo, s7
.LBB8_205:                              ;   in Loop: Header=BB8_23 Depth=2
	s_delay_alu instid0(SALU_CYCLE_1)
	s_or_b32 exec_lo, exec_lo, s8
	s_waitcnt lgkmcnt(0)
	s_barrier
	buffer_gl0_inv
	s_and_saveexec_b32 s9, s3
	s_cbranch_execz .LBB8_228
; %bb.206:                              ;   in Loop: Header=BB8_23 Depth=2
	ds_load_b32 v13, v23 offset:128
	ds_load_b32 v14, v24 offset:128
	s_mov_b32 s22, exec_lo
	s_waitcnt lgkmcnt(1)
	v_cmp_lt_f32_e64 s8, v15, v13
	v_cmpx_nlt_f32_e32 v15, v13
	s_cbranch_execz .LBB8_208
; %bb.207:                              ;   in Loop: Header=BB8_23 Depth=2
	v_cmp_eq_f32_e32 vcc_lo, v15, v13
	s_waitcnt lgkmcnt(0)
	v_cmp_gt_i32_e64 s7, v16, v14
	s_and_not1_b32 s8, s8, exec_lo
	s_delay_alu instid0(VALU_DEP_1) | instskip(NEXT) | instid1(SALU_CYCLE_1)
	s_and_b32 s7, vcc_lo, s7
	s_and_b32 s7, s7, exec_lo
	s_delay_alu instid0(SALU_CYCLE_1)
	s_or_b32 s8, s8, s7
.LBB8_208:                              ;   in Loop: Header=BB8_23 Depth=2
	s_or_b32 exec_lo, exec_lo, s22
	s_delay_alu instid0(VALU_DEP_2)
	s_and_saveexec_b32 s7, s8
	s_cbranch_execz .LBB8_210
; %bb.209:                              ;   in Loop: Header=BB8_23 Depth=2
	s_waitcnt lgkmcnt(0)
	v_dual_mov_b32 v15, v13 :: v_dual_mov_b32 v16, v14
	ds_store_2addr_stride64_b32 v23, v13, v14 offset1:8
.LBB8_210:                              ;   in Loop: Header=BB8_23 Depth=2
	s_or_b32 exec_lo, exec_lo, s7
	ds_load_b32 v13, v23 offset:64
	s_waitcnt lgkmcnt(1)
	ds_load_b32 v14, v24 offset:64
	s_mov_b32 s22, exec_lo
	s_waitcnt lgkmcnt(1)
	v_cmp_lt_f32_e64 s8, v15, v13
	v_cmpx_nlt_f32_e32 v15, v13
	s_cbranch_execz .LBB8_212
; %bb.211:                              ;   in Loop: Header=BB8_23 Depth=2
	v_cmp_eq_f32_e32 vcc_lo, v15, v13
	s_waitcnt lgkmcnt(0)
	v_cmp_gt_i32_e64 s7, v16, v14
	s_and_not1_b32 s8, s8, exec_lo
	s_delay_alu instid0(VALU_DEP_1) | instskip(NEXT) | instid1(SALU_CYCLE_1)
	s_and_b32 s7, vcc_lo, s7
	s_and_b32 s7, s7, exec_lo
	s_delay_alu instid0(SALU_CYCLE_1)
	s_or_b32 s8, s8, s7
.LBB8_212:                              ;   in Loop: Header=BB8_23 Depth=2
	s_or_b32 exec_lo, exec_lo, s22
	s_delay_alu instid0(VALU_DEP_2)
	s_and_saveexec_b32 s7, s8
	s_cbranch_execz .LBB8_214
; %bb.213:                              ;   in Loop: Header=BB8_23 Depth=2
	s_waitcnt lgkmcnt(0)
	v_dual_mov_b32 v15, v13 :: v_dual_mov_b32 v16, v14
	ds_store_2addr_stride64_b32 v23, v13, v14 offset1:8
.LBB8_214:                              ;   in Loop: Header=BB8_23 Depth=2
	s_or_b32 exec_lo, exec_lo, s7
	ds_load_b32 v13, v23 offset:32
	s_waitcnt lgkmcnt(1)
	;; [unrolled: 29-line block ×5, first 2 shown]
	ds_load_b32 v14, v24 offset:4
	s_waitcnt lgkmcnt(1)
	v_cmp_eq_f32_e32 vcc_lo, v15, v13
	s_waitcnt lgkmcnt(0)
	v_cmp_gt_i32_e64 s7, v16, v14
	v_cmp_lt_f32_e64 s8, v15, v13
	s_delay_alu instid0(VALU_DEP_2)
	s_and_b32 s7, vcc_lo, s7
	s_delay_alu instid0(VALU_DEP_1) | instid1(SALU_CYCLE_1)
	s_or_b32 s7, s8, s7
	s_delay_alu instid0(SALU_CYCLE_1)
	s_and_b32 exec_lo, exec_lo, s7
	s_cbranch_execz .LBB8_228
; %bb.227:                              ;   in Loop: Header=BB8_23 Depth=2
	ds_store_2addr_stride64_b32 v23, v13, v14 offset1:8
.LBB8_228:                              ;   in Loop: Header=BB8_23 Depth=2
	s_or_b32 exec_lo, exec_lo, s9
	v_mov_b32_e32 v15, 0
	s_and_saveexec_b32 s8, s5
	s_cbranch_execz .LBB8_232
; %bb.229:                              ;   in Loop: Header=BB8_23 Depth=2
	v_dual_mov_b32 v15, 0 :: v_dual_mov_b32 v14, v2
	v_dual_mov_b32 v13, v1 :: v_dual_mov_b32 v16, v0
	s_mov_b32 s9, 0
.LBB8_230:                              ;   Parent Loop BB8_12 Depth=1
                                        ;     Parent Loop BB8_23 Depth=2
                                        ; =>    This Inner Loop Header: Depth=3
	global_load_b32 v17, v[13:14], off
	v_add_nc_u32_e32 v16, 0x100, v16
	v_add_co_u32 v13, vcc_lo, 0x400, v13
	v_add_co_ci_u32_e32 v14, vcc_lo, 0, v14, vcc_lo
	s_waitcnt vmcnt(0)
	v_fmac_f32_e32 v15, v17, v17
	v_cmp_lt_i32_e64 s7, s58, v16
	s_delay_alu instid0(VALU_DEP_1) | instskip(NEXT) | instid1(SALU_CYCLE_1)
	s_or_b32 s9, s7, s9
	s_and_not1_b32 exec_lo, exec_lo, s9
	s_cbranch_execnz .LBB8_230
; %bb.231:                              ;   in Loop: Header=BB8_23 Depth=2
	s_or_b32 exec_lo, exec_lo, s9
.LBB8_232:                              ;   in Loop: Header=BB8_23 Depth=2
	s_delay_alu instid0(SALU_CYCLE_1)
	s_or_b32 exec_lo, exec_lo, s8
	ds_store_b32 v23, v15 offset:1024
	s_waitcnt lgkmcnt(0)
	s_barrier
	buffer_gl0_inv
	s_and_saveexec_b32 s7, s0
	s_cbranch_execz .LBB8_234
; %bb.233:                              ;   in Loop: Header=BB8_23 Depth=2
	ds_load_b32 v13, v23 offset:1536
	s_waitcnt lgkmcnt(0)
	v_add_f32_e32 v15, v15, v13
.LBB8_234:                              ;   in Loop: Header=BB8_23 Depth=2
	s_or_b32 exec_lo, exec_lo, s7
	s_barrier
	buffer_gl0_inv
	s_and_saveexec_b32 s7, s0
	s_cbranch_execz .LBB8_236
; %bb.235:                              ;   in Loop: Header=BB8_23 Depth=2
	ds_store_b32 v23, v15 offset:1024
.LBB8_236:                              ;   in Loop: Header=BB8_23 Depth=2
	s_or_b32 exec_lo, exec_lo, s7
	s_waitcnt lgkmcnt(0)
	s_barrier
	buffer_gl0_inv
	s_and_saveexec_b32 s7, s1
	s_cbranch_execz .LBB8_238
; %bb.237:                              ;   in Loop: Header=BB8_23 Depth=2
	ds_load_b32 v13, v23 offset:1280
	s_waitcnt lgkmcnt(0)
	v_add_f32_e32 v15, v15, v13
.LBB8_238:                              ;   in Loop: Header=BB8_23 Depth=2
	s_or_b32 exec_lo, exec_lo, s7
	s_barrier
	buffer_gl0_inv
	s_and_saveexec_b32 s7, s1
	s_cbranch_execz .LBB8_240
; %bb.239:                              ;   in Loop: Header=BB8_23 Depth=2
	ds_store_b32 v23, v15 offset:1024
.LBB8_240:                              ;   in Loop: Header=BB8_23 Depth=2
	s_or_b32 exec_lo, exec_lo, s7
	s_waitcnt lgkmcnt(0)
	s_barrier
	buffer_gl0_inv
	s_and_saveexec_b32 s7, s3
	s_cbranch_execz .LBB8_242
; %bb.241:                              ;   in Loop: Header=BB8_23 Depth=2
	v_add_nc_u32_e32 v15, 0x400, v23
	ds_load_2addr_b32 v[13:14], v15 offset1:32
	s_waitcnt lgkmcnt(0)
	v_add_f32_e32 v13, v13, v14
	ds_store_b32 v23, v13 offset:1024
	s_waitcnt lgkmcnt(0)
	buffer_gl1_inv
	buffer_gl0_inv
	ds_load_2addr_b32 v[13:14], v15 offset1:16
	s_waitcnt lgkmcnt(0)
	v_add_f32_e32 v13, v13, v14
	ds_store_b32 v23, v13 offset:1024
	s_waitcnt lgkmcnt(0)
	buffer_gl1_inv
	buffer_gl0_inv
	;; [unrolled: 7-line block ×4, first 2 shown]
	ds_load_2addr_b32 v[13:14], v15 offset1:2
	s_waitcnt lgkmcnt(0)
	v_dual_add_f32 v13, v13, v14 :: v_dual_add_nc_u32 v14, 0x400, v23
	ds_store_b32 v23, v13 offset:1024
	s_waitcnt lgkmcnt(0)
	buffer_gl1_inv
	buffer_gl0_inv
	ds_load_2addr_b32 v[13:14], v14 offset1:1
	s_waitcnt lgkmcnt(0)
	v_add_f32_e32 v13, v13, v14
	ds_store_b32 v23, v13 offset:1024
	s_waitcnt lgkmcnt(0)
	buffer_gl1_inv
	buffer_gl0_inv
.LBB8_242:                              ;   in Loop: Header=BB8_23 Depth=2
	s_or_b32 exec_lo, exec_lo, s7
	s_and_saveexec_b32 s8, s2
	s_cbranch_execz .LBB8_244
; %bb.243:                              ;   in Loop: Header=BB8_23 Depth=2
	ds_load_b32 v13, v28 offset:1024
	s_waitcnt lgkmcnt(0)
	v_mul_f32_e32 v14, 0x4f800000, v13
	v_cmp_gt_f32_e32 vcc_lo, 0xf800000, v13
	s_delay_alu instid0(VALU_DEP_2) | instskip(NEXT) | instid1(VALU_DEP_1)
	v_cndmask_b32_e32 v13, v13, v14, vcc_lo
	v_sqrt_f32_e32 v14, v13
	s_waitcnt_depctr 0xfff
	v_add_nc_u32_e32 v15, -1, v14
	v_add_nc_u32_e32 v16, 1, v14
	s_delay_alu instid0(VALU_DEP_2) | instskip(NEXT) | instid1(VALU_DEP_2)
	v_fma_f32 v17, -v15, v14, v13
	v_fma_f32 v18, -v16, v14, v13
	s_delay_alu instid0(VALU_DEP_2) | instskip(NEXT) | instid1(VALU_DEP_1)
	v_cmp_ge_f32_e64 s7, 0, v17
	v_cndmask_b32_e64 v14, v14, v15, s7
	s_delay_alu instid0(VALU_DEP_3) | instskip(NEXT) | instid1(VALU_DEP_1)
	v_cmp_lt_f32_e64 s7, 0, v18
	v_cndmask_b32_e64 v14, v14, v16, s7
	s_delay_alu instid0(VALU_DEP_1) | instskip(NEXT) | instid1(VALU_DEP_1)
	v_mul_f32_e32 v15, 0x37800000, v14
	v_cndmask_b32_e32 v14, v14, v15, vcc_lo
	v_cmp_class_f32_e64 vcc_lo, v13, 0x260
	s_delay_alu instid0(VALU_DEP_2)
	v_cndmask_b32_e32 v13, v14, v13, vcc_lo
	ds_store_b32 v28, v13 offset:1024
.LBB8_244:                              ;   in Loop: Header=BB8_23 Depth=2
	s_or_b32 exec_lo, exec_lo, s8
	s_waitcnt lgkmcnt(0)
	s_barrier
	buffer_gl0_inv
	ds_load_2addr_stride64_b32 v[13:14], v28 offset0:4 offset1:8
	s_waitcnt lgkmcnt(0)
	v_ashrrev_i32_e32 v15, 31, v14
	s_delay_alu instid0(VALU_DEP_1) | instskip(NEXT) | instid1(VALU_DEP_1)
	v_lshlrev_b64 v[14:15], 2, v[14:15]
	v_add_co_u32 v14, vcc_lo, s95, v14
	s_delay_alu instid0(VALU_DEP_2)
	v_add_co_ci_u32_e32 v15, vcc_lo, s96, v15, vcc_lo
	global_load_b32 v14, v[14:15], off
	s_waitcnt vmcnt(0)
	s_barrier
	buffer_gl0_inv
	s_and_saveexec_b32 s8, s5
	s_cbranch_execz .LBB8_247
; %bb.245:                              ;   in Loop: Header=BB8_23 Depth=2
	v_cmp_nle_f32_e32 vcc_lo, 0, v14
	s_mov_b32 s9, 0
	v_cndmask_b32_e64 v16, 1.0, -1.0, vcc_lo
	s_delay_alu instid0(VALU_DEP_1) | instskip(SKIP_1) | instid1(VALU_DEP_2)
	v_div_scale_f32 v14, null, v13, v13, v16
	v_div_scale_f32 v18, vcc_lo, v16, v13, v16
	v_rcp_f32_e32 v15, v14
	s_waitcnt_depctr 0xfff
	v_fma_f32 v17, -v14, v15, 1.0
	s_delay_alu instid0(VALU_DEP_1) | instskip(NEXT) | instid1(VALU_DEP_1)
	v_fmac_f32_e32 v15, v17, v15
	v_mul_f32_e32 v17, v18, v15
	s_delay_alu instid0(VALU_DEP_1) | instskip(NEXT) | instid1(VALU_DEP_1)
	v_fma_f32 v19, -v14, v17, v18
	v_fmac_f32_e32 v17, v19, v15
	s_delay_alu instid0(VALU_DEP_1) | instskip(NEXT) | instid1(VALU_DEP_1)
	v_fma_f32 v14, -v14, v17, v18
	v_div_fmas_f32 v17, v14, v15, v17
	v_dual_mov_b32 v15, v2 :: v_dual_mov_b32 v14, v1
	s_delay_alu instid0(VALU_DEP_2)
	v_div_fixup_f32 v13, v17, v13, v16
	v_mov_b32_e32 v16, v0
.LBB8_246:                              ;   Parent Loop BB8_12 Depth=1
                                        ;     Parent Loop BB8_23 Depth=2
                                        ; =>    This Inner Loop Header: Depth=3
	global_load_b32 v17, v[14:15], off
	s_waitcnt vmcnt(0)
	v_dual_mul_f32 v17, v13, v17 :: v_dual_add_nc_u32 v16, 0x100, v16
	s_delay_alu instid0(VALU_DEP_1) | instskip(SKIP_2) | instid1(VALU_DEP_1)
	v_cmp_lt_i32_e32 vcc_lo, s58, v16
	global_store_b32 v[14:15], v17, off
	v_add_co_u32 v14, s7, 0x400, v14
	v_add_co_ci_u32_e64 v15, s7, 0, v15, s7
	s_or_b32 s9, vcc_lo, s9
	s_delay_alu instid0(SALU_CYCLE_1)
	s_and_not1_b32 exec_lo, exec_lo, s9
	s_cbranch_execnz .LBB8_246
.LBB8_247:                              ;   in Loop: Header=BB8_23 Depth=2
	s_or_b32 exec_lo, exec_lo, s8
	s_waitcnt_vscnt null, 0x0
	s_barrier
.LBB8_248:                              ;   in Loop: Header=BB8_23 Depth=2
	s_waitcnt vmcnt(0)
	s_waitcnt_vscnt null, 0x0
	buffer_gl0_inv
	s_and_saveexec_b32 s8, s4
	s_cbranch_execz .LBB8_22
; %bb.249:                              ;   in Loop: Header=BB8_23 Depth=2
	v_dual_mov_b32 v14, v12 :: v_dual_mov_b32 v13, v11
	v_mov_b32_e32 v15, v0
	s_mov_b32 s9, 0
	s_set_inst_prefetch_distance 0x1
	s_branch .LBB8_251
	.p2align	6
.LBB8_250:                              ;   in Loop: Header=BB8_251 Depth=3
	s_or_b32 exec_lo, exec_lo, s7
	v_add_nc_u32_e32 v17, s27, v15
	v_add_nc_u32_e32 v15, 0x100, v15
	s_delay_alu instid0(VALU_DEP_2) | instskip(NEXT) | instid1(VALU_DEP_2)
	v_ashrrev_i32_e32 v18, 31, v17
	v_cmp_le_i32_e32 vcc_lo, s24, v15
	s_delay_alu instid0(VALU_DEP_2) | instskip(SKIP_1) | instid1(VALU_DEP_1)
	v_lshlrev_b64 v[17:18], 2, v[17:18]
	s_or_b32 s9, vcc_lo, s9
	v_add_co_u32 v17, s7, s10, v17
	s_delay_alu instid0(VALU_DEP_1) | instskip(SKIP_1) | instid1(VALU_DEP_1)
	v_add_co_ci_u32_e64 v18, s7, s88, v18, s7
	v_add_co_u32 v13, s7, 0x400, v13
	v_add_co_ci_u32_e64 v14, s7, 0, v14, s7
	s_waitcnt vmcnt(0)
	global_store_b32 v[17:18], v16, off
	s_and_not1_b32 exec_lo, exec_lo, s9
	s_cbranch_execz .LBB8_22
.LBB8_251:                              ;   Parent Loop BB8_12 Depth=1
                                        ;     Parent Loop BB8_23 Depth=2
                                        ; =>    This Inner Loop Header: Depth=3
	s_delay_alu instid0(VALU_DEP_1) | instskip(SKIP_2) | instid1(VALU_DEP_2)
	v_cmp_le_i32_e32 vcc_lo, s54, v15
	v_cmp_gt_i32_e64 s7, s56, v15
	v_mov_b32_e32 v16, 0
	s_and_b32 s22, vcc_lo, s7
	s_delay_alu instid0(SALU_CYCLE_1)
	s_and_saveexec_b32 s7, s22
	s_cbranch_execz .LBB8_250
; %bb.252:                              ;   in Loop: Header=BB8_251 Depth=3
	global_load_b32 v16, v[13:14], off
	s_branch .LBB8_250
.LBB8_253:
	s_and_saveexec_b32 s0, s2
	s_cbranch_execz .LBB8_255
; %bb.254:
	v_mov_b32_e32 v0, 0
	v_readlane_b32 s4, v44, 2
	v_readlane_b32 s10, v44, 8
	;; [unrolled: 1-line block ×4, first 2 shown]
	ds_load_b32 v1, v0
	v_readlane_b32 s1, v44, 1
	v_readlane_b32 s6, v44, 4
	;; [unrolled: 1-line block ×3, first 2 shown]
	s_mov_b64 s[6:7], s[10:11]
	v_readlane_b32 s5, v44, 3
	s_add_u32 s0, s6, s0
	s_addc_u32 s1, s7, s1
	v_readlane_b32 s8, v44, 6
	v_readlane_b32 s9, v44, 7
	s_waitcnt lgkmcnt(0)
	global_store_b32 v0, v1, s[0:1]
.LBB8_255:
	s_endpgm
	.section	.rodata,"a",@progbits
	.p2align	6, 0x0
	.amdhsa_kernel _ZN9rocsolver6v33100L12stein_kernelIffPfEEviPT0_lS4_lPiS4_lS5_lS5_lT1_iilS5_lS5_S4_S5_S3_S3_
		.amdhsa_group_segment_fixed_size 8
		.amdhsa_private_segment_fixed_size 0
		.amdhsa_kernarg_size 168
		.amdhsa_user_sgpr_count 14
		.amdhsa_user_sgpr_dispatch_ptr 0
		.amdhsa_user_sgpr_queue_ptr 0
		.amdhsa_user_sgpr_kernarg_segment_ptr 1
		.amdhsa_user_sgpr_dispatch_id 0
		.amdhsa_user_sgpr_private_segment_size 0
		.amdhsa_wavefront_size32 1
		.amdhsa_uses_dynamic_stack 0
		.amdhsa_enable_private_segment 0
		.amdhsa_system_sgpr_workgroup_id_x 1
		.amdhsa_system_sgpr_workgroup_id_y 1
		.amdhsa_system_sgpr_workgroup_id_z 0
		.amdhsa_system_sgpr_workgroup_info 0
		.amdhsa_system_vgpr_workitem_id 0
		.amdhsa_next_free_vgpr 45
		.amdhsa_next_free_sgpr 105
		.amdhsa_reserve_vcc 1
		.amdhsa_float_round_mode_32 0
		.amdhsa_float_round_mode_16_64 0
		.amdhsa_float_denorm_mode_32 3
		.amdhsa_float_denorm_mode_16_64 3
		.amdhsa_dx10_clamp 1
		.amdhsa_ieee_mode 1
		.amdhsa_fp16_overflow 0
		.amdhsa_workgroup_processor_mode 1
		.amdhsa_memory_ordered 1
		.amdhsa_forward_progress 0
		.amdhsa_shared_vgpr_count 0
		.amdhsa_exception_fp_ieee_invalid_op 0
		.amdhsa_exception_fp_denorm_src 0
		.amdhsa_exception_fp_ieee_div_zero 0
		.amdhsa_exception_fp_ieee_overflow 0
		.amdhsa_exception_fp_ieee_underflow 0
		.amdhsa_exception_fp_ieee_inexact 0
		.amdhsa_exception_int_div_zero 0
	.end_amdhsa_kernel
	.section	.text._ZN9rocsolver6v33100L12stein_kernelIffPfEEviPT0_lS4_lPiS4_lS5_lS5_lT1_iilS5_lS5_S4_S5_S3_S3_,"axG",@progbits,_ZN9rocsolver6v33100L12stein_kernelIffPfEEviPT0_lS4_lPiS4_lS5_lS5_lT1_iilS5_lS5_S4_S5_S3_S3_,comdat
.Lfunc_end8:
	.size	_ZN9rocsolver6v33100L12stein_kernelIffPfEEviPT0_lS4_lPiS4_lS5_lS5_lT1_iilS5_lS5_S4_S5_S3_S3_, .Lfunc_end8-_ZN9rocsolver6v33100L12stein_kernelIffPfEEviPT0_lS4_lPiS4_lS5_lS5_lT1_iilS5_lS5_S4_S5_S3_S3_
                                        ; -- End function
	.section	.AMDGPU.csdata,"",@progbits
; Kernel info:
; codeLenInByte = 11096
; NumSgprs: 107
; NumVgprs: 45
; ScratchSize: 0
; MemoryBound: 0
; FloatMode: 240
; IeeeMode: 1
; LDSByteSize: 8 bytes/workgroup (compile time only)
; SGPRBlocks: 13
; VGPRBlocks: 5
; NumSGPRsForWavesPerEU: 107
; NumVGPRsForWavesPerEU: 45
; Occupancy: 16
; WaveLimiterHint : 1
; COMPUTE_PGM_RSRC2:SCRATCH_EN: 0
; COMPUTE_PGM_RSRC2:USER_SGPR: 14
; COMPUTE_PGM_RSRC2:TRAP_HANDLER: 0
; COMPUTE_PGM_RSRC2:TGID_X_EN: 1
; COMPUTE_PGM_RSRC2:TGID_Y_EN: 1
; COMPUTE_PGM_RSRC2:TGID_Z_EN: 0
; COMPUTE_PGM_RSRC2:TIDIG_COMP_CNT: 0
	.text
	.p2align	2                               ; -- Begin function __ockl_fprintf_append_string_n
	.type	__ockl_fprintf_append_string_n,@function
__ockl_fprintf_append_string_n:         ; @__ockl_fprintf_append_string_n
; %bb.0:
	s_waitcnt vmcnt(0) expcnt(0) lgkmcnt(0)
	v_dual_mov_b32 v8, v3 :: v_dual_mov_b32 v7, v2
	v_or_b32_e32 v2, 2, v0
	v_cmp_eq_u32_e32 vcc_lo, 0, v6
	v_mbcnt_lo_u32_b32 v33, -1, 0
	s_mov_b32 s11, 0
	s_mov_b32 s0, exec_lo
	v_cndmask_b32_e32 v0, v2, v0, vcc_lo
	v_cmpx_ne_u64_e32 0, v[7:8]
	s_xor_b32 s10, exec_lo, s0
	s_cbranch_execz .LBB9_86
; %bb.1:
	s_load_b64 s[2:3], s[8:9], 0x50
	v_dual_mov_b32 v11, 2 :: v_dual_and_b32 v6, 2, v0
	v_mov_b32_e32 v10, 0
	v_and_b32_e32 v0, -3, v0
	v_mov_b32_e32 v12, 1
	s_mov_b32 s12, 0
	s_branch .LBB9_3
.LBB9_2:                                ;   in Loop: Header=BB9_3 Depth=1
	s_or_b32 exec_lo, exec_lo, s1
	v_sub_co_u32 v4, vcc_lo, v4, v29
	v_sub_co_ci_u32_e32 v5, vcc_lo, v5, v30, vcc_lo
	v_add_co_u32 v7, s0, v7, v29
	s_delay_alu instid0(VALU_DEP_1) | instskip(NEXT) | instid1(VALU_DEP_3)
	v_add_co_ci_u32_e64 v8, s0, v8, v30, s0
	v_cmp_eq_u64_e32 vcc_lo, 0, v[4:5]
	s_or_b32 s12, vcc_lo, s12
	s_delay_alu instid0(SALU_CYCLE_1)
	s_and_not1_b32 exec_lo, exec_lo, s12
	s_cbranch_execz .LBB9_85
.LBB9_3:                                ; =>This Loop Header: Depth=1
                                        ;     Child Loop BB9_6 Depth 2
                                        ;     Child Loop BB9_14 Depth 2
	;; [unrolled: 1-line block ×11, first 2 shown]
	v_cmp_gt_u64_e32 vcc_lo, 56, v[4:5]
	s_mov_b32 s1, exec_lo
                                        ; implicit-def: $vgpr2_vgpr3
                                        ; implicit-def: $sgpr4
	v_dual_cndmask_b32 v30, 0, v5 :: v_dual_cndmask_b32 v29, 56, v4
	v_cmpx_gt_u64_e32 8, v[4:5]
	s_xor_b32 s1, exec_lo, s1
	s_cbranch_execz .LBB9_9
; %bb.4:                                ;   in Loop: Header=BB9_3 Depth=1
	s_waitcnt vmcnt(0)
	v_mov_b32_e32 v2, 0
	v_mov_b32_e32 v3, 0
	s_mov_b64 s[4:5], 0
	s_mov_b32 s6, exec_lo
	v_cmpx_ne_u64_e32 0, v[4:5]
	s_cbranch_execz .LBB9_8
; %bb.5:                                ;   in Loop: Header=BB9_3 Depth=1
	v_lshlrev_b64 v[13:14], 3, v[29:30]
	v_dual_mov_b32 v2, 0 :: v_dual_mov_b32 v15, v8
	v_dual_mov_b32 v3, 0 :: v_dual_mov_b32 v14, v7
	s_mov_b32 s7, 0
	.p2align	6
.LBB9_6:                                ;   Parent Loop BB9_3 Depth=1
                                        ; =>  This Inner Loop Header: Depth=2
	flat_load_u8 v9, v[14:15]
	v_mov_b32_e32 v17, s11
	v_add_co_u32 v14, vcc_lo, v14, 1
	v_add_co_ci_u32_e32 v15, vcc_lo, 0, v15, vcc_lo
	s_waitcnt vmcnt(0) lgkmcnt(0)
	v_and_b32_e32 v16, 0xffff, v9
	s_delay_alu instid0(VALU_DEP_1) | instskip(SKIP_3) | instid1(VALU_DEP_2)
	v_lshlrev_b64 v[16:17], s4, v[16:17]
	s_add_u32 s4, s4, 8
	s_addc_u32 s5, s5, 0
	v_cmp_eq_u32_e64 s0, s4, v13
	v_or_b32_e32 v3, v17, v3
	s_delay_alu instid0(VALU_DEP_3) | instskip(NEXT) | instid1(VALU_DEP_3)
	v_or_b32_e32 v2, v16, v2
	s_or_b32 s7, s0, s7
	s_delay_alu instid0(SALU_CYCLE_1)
	s_and_not1_b32 exec_lo, exec_lo, s7
	s_cbranch_execnz .LBB9_6
; %bb.7:                                ;   in Loop: Header=BB9_3 Depth=1
	s_or_b32 exec_lo, exec_lo, s7
.LBB9_8:                                ;   in Loop: Header=BB9_3 Depth=1
	s_delay_alu instid0(SALU_CYCLE_1)
	s_or_b32 exec_lo, exec_lo, s6
	s_mov_b32 s4, 0
.LBB9_9:                                ;   in Loop: Header=BB9_3 Depth=1
	s_or_saveexec_b32 s0, s1
	v_dual_mov_b32 v9, s4 :: v_dual_mov_b32 v26, v8
	v_mov_b32_e32 v25, v7
	s_xor_b32 exec_lo, exec_lo, s0
	s_cbranch_execz .LBB9_11
; %bb.10:                               ;   in Loop: Header=BB9_3 Depth=1
	s_waitcnt vmcnt(0)
	flat_load_b64 v[2:3], v[7:8]
	v_add_co_u32 v25, vcc_lo, v7, 8
	v_add_co_ci_u32_e32 v26, vcc_lo, 0, v8, vcc_lo
	s_waitcnt vmcnt(0) lgkmcnt(0)
	v_and_b32_e32 v9, 0xff, v3
	v_and_b32_e32 v13, 0xff00, v3
	;; [unrolled: 1-line block ×4, first 2 shown]
	v_or3_b32 v2, v2, 0, 0
	s_delay_alu instid0(VALU_DEP_4) | instskip(SKIP_1) | instid1(VALU_DEP_2)
	v_or_b32_e32 v13, v9, v13
	v_add_nc_u32_e32 v9, -8, v29
	v_or3_b32 v3, v13, v14, v3
.LBB9_11:                               ;   in Loop: Header=BB9_3 Depth=1
	s_or_b32 exec_lo, exec_lo, s0
                                        ; implicit-def: $vgpr13_vgpr14
                                        ; implicit-def: $sgpr1
	s_delay_alu instid0(SALU_CYCLE_1) | instskip(NEXT) | instid1(VALU_DEP_2)
	s_mov_b32 s0, exec_lo
	v_cmpx_gt_u32_e32 8, v9
	s_xor_b32 s6, exec_lo, s0
	s_cbranch_execz .LBB9_17
; %bb.12:                               ;   in Loop: Header=BB9_3 Depth=1
	v_mov_b32_e32 v13, 0
	v_mov_b32_e32 v14, 0
	s_mov_b32 s7, exec_lo
	v_cmpx_ne_u32_e32 0, v9
	s_cbranch_execz .LBB9_16
; %bb.13:                               ;   in Loop: Header=BB9_3 Depth=1
	v_mov_b32_e32 v13, 0
	v_mov_b32_e32 v14, 0
	s_mov_b64 s[0:1], 0
	s_mov_b32 s13, 0
	s_mov_b64 s[4:5], 0
	.p2align	6
.LBB9_14:                               ;   Parent Loop BB9_3 Depth=1
                                        ; =>  This Inner Loop Header: Depth=2
	s_delay_alu instid0(SALU_CYCLE_1)
	v_add_co_u32 v15, vcc_lo, v25, s4
	v_add_co_ci_u32_e32 v16, vcc_lo, s5, v26, vcc_lo
	s_add_u32 s4, s4, 1
	s_addc_u32 s5, s5, 0
	v_cmp_eq_u32_e32 vcc_lo, s4, v9
	flat_load_u8 v15, v[15:16]
	s_waitcnt vmcnt(0) lgkmcnt(0)
	v_dual_mov_b32 v16, s11 :: v_dual_and_b32 v15, 0xffff, v15
	s_delay_alu instid0(VALU_DEP_1) | instskip(SKIP_3) | instid1(VALU_DEP_1)
	v_lshlrev_b64 v[15:16], s0, v[15:16]
	s_add_u32 s0, s0, 8
	s_addc_u32 s1, s1, 0
	s_or_b32 s13, vcc_lo, s13
	v_or_b32_e32 v14, v16, v14
	s_delay_alu instid0(VALU_DEP_2)
	v_or_b32_e32 v13, v15, v13
	s_and_not1_b32 exec_lo, exec_lo, s13
	s_cbranch_execnz .LBB9_14
; %bb.15:                               ;   in Loop: Header=BB9_3 Depth=1
	s_or_b32 exec_lo, exec_lo, s13
.LBB9_16:                               ;   in Loop: Header=BB9_3 Depth=1
	s_delay_alu instid0(SALU_CYCLE_1)
	s_or_b32 exec_lo, exec_lo, s7
	s_mov_b32 s1, 0
                                        ; implicit-def: $vgpr9
.LBB9_17:                               ;   in Loop: Header=BB9_3 Depth=1
	s_or_saveexec_b32 s0, s6
	v_mov_b32_e32 v17, s1
	s_xor_b32 exec_lo, exec_lo, s0
	s_cbranch_execz .LBB9_19
; %bb.18:                               ;   in Loop: Header=BB9_3 Depth=1
	flat_load_b64 v[13:14], v[25:26]
	v_add_co_u32 v25, vcc_lo, v25, 8
	v_add_nc_u32_e32 v17, -8, v9
	v_add_co_ci_u32_e32 v26, vcc_lo, 0, v26, vcc_lo
	s_waitcnt vmcnt(0) lgkmcnt(0)
	v_and_b32_e32 v15, 0xff, v14
	v_and_b32_e32 v16, 0xff00, v14
	;; [unrolled: 1-line block ×4, first 2 shown]
	v_or3_b32 v13, v13, 0, 0
	s_delay_alu instid0(VALU_DEP_4) | instskip(NEXT) | instid1(VALU_DEP_1)
	v_or_b32_e32 v15, v15, v16
	v_or3_b32 v14, v15, v18, v14
.LBB9_19:                               ;   in Loop: Header=BB9_3 Depth=1
	s_or_b32 exec_lo, exec_lo, s0
                                        ; implicit-def: $sgpr1
	s_delay_alu instid0(SALU_CYCLE_1)
	s_mov_b32 s0, exec_lo
	v_cmpx_gt_u32_e32 8, v17
	s_xor_b32 s6, exec_lo, s0
	s_cbranch_execz .LBB9_25
; %bb.20:                               ;   in Loop: Header=BB9_3 Depth=1
	v_mov_b32_e32 v15, 0
	v_mov_b32_e32 v16, 0
	s_mov_b32 s7, exec_lo
	v_cmpx_ne_u32_e32 0, v17
	s_cbranch_execz .LBB9_24
; %bb.21:                               ;   in Loop: Header=BB9_3 Depth=1
	v_mov_b32_e32 v15, 0
	v_mov_b32_e32 v16, 0
	s_mov_b64 s[0:1], 0
	s_mov_b32 s13, 0
	s_mov_b64 s[4:5], 0
	.p2align	6
.LBB9_22:                               ;   Parent Loop BB9_3 Depth=1
                                        ; =>  This Inner Loop Header: Depth=2
	s_delay_alu instid0(SALU_CYCLE_1)
	v_add_co_u32 v18, vcc_lo, v25, s4
	v_add_co_ci_u32_e32 v19, vcc_lo, s5, v26, vcc_lo
	s_add_u32 s4, s4, 1
	s_addc_u32 s5, s5, 0
	v_cmp_eq_u32_e32 vcc_lo, s4, v17
	flat_load_u8 v9, v[18:19]
	s_waitcnt vmcnt(0) lgkmcnt(0)
	v_dual_mov_b32 v19, s11 :: v_dual_and_b32 v18, 0xffff, v9
	s_delay_alu instid0(VALU_DEP_1) | instskip(SKIP_3) | instid1(VALU_DEP_1)
	v_lshlrev_b64 v[18:19], s0, v[18:19]
	s_add_u32 s0, s0, 8
	s_addc_u32 s1, s1, 0
	s_or_b32 s13, vcc_lo, s13
	v_or_b32_e32 v16, v19, v16
	s_delay_alu instid0(VALU_DEP_2)
	v_or_b32_e32 v15, v18, v15
	s_and_not1_b32 exec_lo, exec_lo, s13
	s_cbranch_execnz .LBB9_22
; %bb.23:                               ;   in Loop: Header=BB9_3 Depth=1
	s_or_b32 exec_lo, exec_lo, s13
.LBB9_24:                               ;   in Loop: Header=BB9_3 Depth=1
	s_delay_alu instid0(SALU_CYCLE_1)
	s_or_b32 exec_lo, exec_lo, s7
	s_mov_b32 s1, 0
                                        ; implicit-def: $vgpr17
.LBB9_25:                               ;   in Loop: Header=BB9_3 Depth=1
	s_or_saveexec_b32 s0, s6
	v_mov_b32_e32 v9, s1
	s_xor_b32 exec_lo, exec_lo, s0
	s_cbranch_execz .LBB9_27
; %bb.26:                               ;   in Loop: Header=BB9_3 Depth=1
	flat_load_b64 v[15:16], v[25:26]
	v_add_co_u32 v25, vcc_lo, v25, 8
	v_add_co_ci_u32_e32 v26, vcc_lo, 0, v26, vcc_lo
	s_waitcnt vmcnt(0) lgkmcnt(0)
	v_and_b32_e32 v9, 0xff, v16
	v_and_b32_e32 v18, 0xff00, v16
	v_and_b32_e32 v19, 0xff0000, v16
	v_and_b32_e32 v16, 0xff000000, v16
	v_or3_b32 v15, v15, 0, 0
	s_delay_alu instid0(VALU_DEP_4) | instskip(SKIP_1) | instid1(VALU_DEP_2)
	v_or_b32_e32 v18, v9, v18
	v_add_nc_u32_e32 v9, -8, v17
	v_or3_b32 v16, v18, v19, v16
.LBB9_27:                               ;   in Loop: Header=BB9_3 Depth=1
	s_or_b32 exec_lo, exec_lo, s0
                                        ; implicit-def: $vgpr17_vgpr18
                                        ; implicit-def: $sgpr1
	s_delay_alu instid0(SALU_CYCLE_1) | instskip(NEXT) | instid1(VALU_DEP_1)
	s_mov_b32 s0, exec_lo
	v_cmpx_gt_u32_e32 8, v9
	s_xor_b32 s6, exec_lo, s0
	s_cbranch_execz .LBB9_33
; %bb.28:                               ;   in Loop: Header=BB9_3 Depth=1
	v_mov_b32_e32 v17, 0
	v_mov_b32_e32 v18, 0
	s_mov_b32 s7, exec_lo
	v_cmpx_ne_u32_e32 0, v9
	s_cbranch_execz .LBB9_32
; %bb.29:                               ;   in Loop: Header=BB9_3 Depth=1
	v_mov_b32_e32 v17, 0
	v_mov_b32_e32 v18, 0
	s_mov_b64 s[0:1], 0
	s_mov_b32 s13, 0
	s_mov_b64 s[4:5], 0
	.p2align	6
.LBB9_30:                               ;   Parent Loop BB9_3 Depth=1
                                        ; =>  This Inner Loop Header: Depth=2
	s_delay_alu instid0(SALU_CYCLE_1)
	v_add_co_u32 v19, vcc_lo, v25, s4
	v_add_co_ci_u32_e32 v20, vcc_lo, s5, v26, vcc_lo
	s_add_u32 s4, s4, 1
	s_addc_u32 s5, s5, 0
	v_cmp_eq_u32_e32 vcc_lo, s4, v9
	flat_load_u8 v19, v[19:20]
	s_waitcnt vmcnt(0) lgkmcnt(0)
	v_dual_mov_b32 v20, s11 :: v_dual_and_b32 v19, 0xffff, v19
	s_delay_alu instid0(VALU_DEP_1) | instskip(SKIP_3) | instid1(VALU_DEP_1)
	v_lshlrev_b64 v[19:20], s0, v[19:20]
	s_add_u32 s0, s0, 8
	s_addc_u32 s1, s1, 0
	s_or_b32 s13, vcc_lo, s13
	v_or_b32_e32 v18, v20, v18
	s_delay_alu instid0(VALU_DEP_2)
	v_or_b32_e32 v17, v19, v17
	s_and_not1_b32 exec_lo, exec_lo, s13
	s_cbranch_execnz .LBB9_30
; %bb.31:                               ;   in Loop: Header=BB9_3 Depth=1
	s_or_b32 exec_lo, exec_lo, s13
.LBB9_32:                               ;   in Loop: Header=BB9_3 Depth=1
	s_delay_alu instid0(SALU_CYCLE_1)
	s_or_b32 exec_lo, exec_lo, s7
	s_mov_b32 s1, 0
                                        ; implicit-def: $vgpr9
.LBB9_33:                               ;   in Loop: Header=BB9_3 Depth=1
	s_or_saveexec_b32 s0, s6
	v_mov_b32_e32 v21, s1
	s_xor_b32 exec_lo, exec_lo, s0
	s_cbranch_execz .LBB9_35
; %bb.34:                               ;   in Loop: Header=BB9_3 Depth=1
	flat_load_b64 v[17:18], v[25:26]
	v_add_co_u32 v25, vcc_lo, v25, 8
	v_add_nc_u32_e32 v21, -8, v9
	v_add_co_ci_u32_e32 v26, vcc_lo, 0, v26, vcc_lo
	s_waitcnt vmcnt(0) lgkmcnt(0)
	v_and_b32_e32 v19, 0xff, v18
	v_and_b32_e32 v20, 0xff00, v18
	;; [unrolled: 1-line block ×4, first 2 shown]
	v_or3_b32 v17, v17, 0, 0
	s_delay_alu instid0(VALU_DEP_4) | instskip(NEXT) | instid1(VALU_DEP_1)
	v_or_b32_e32 v19, v19, v20
	v_or3_b32 v18, v19, v22, v18
.LBB9_35:                               ;   in Loop: Header=BB9_3 Depth=1
	s_or_b32 exec_lo, exec_lo, s0
                                        ; implicit-def: $sgpr1
	s_delay_alu instid0(SALU_CYCLE_1)
	s_mov_b32 s0, exec_lo
	v_cmpx_gt_u32_e32 8, v21
	s_xor_b32 s6, exec_lo, s0
	s_cbranch_execz .LBB9_41
; %bb.36:                               ;   in Loop: Header=BB9_3 Depth=1
	v_mov_b32_e32 v19, 0
	v_mov_b32_e32 v20, 0
	s_mov_b32 s7, exec_lo
	v_cmpx_ne_u32_e32 0, v21
	s_cbranch_execz .LBB9_40
; %bb.37:                               ;   in Loop: Header=BB9_3 Depth=1
	v_mov_b32_e32 v19, 0
	v_mov_b32_e32 v20, 0
	s_mov_b64 s[0:1], 0
	s_mov_b32 s13, 0
	s_mov_b64 s[4:5], 0
	.p2align	6
.LBB9_38:                               ;   Parent Loop BB9_3 Depth=1
                                        ; =>  This Inner Loop Header: Depth=2
	s_delay_alu instid0(SALU_CYCLE_1)
	v_add_co_u32 v22, vcc_lo, v25, s4
	v_add_co_ci_u32_e32 v23, vcc_lo, s5, v26, vcc_lo
	s_add_u32 s4, s4, 1
	s_addc_u32 s5, s5, 0
	v_cmp_eq_u32_e32 vcc_lo, s4, v21
	flat_load_u8 v9, v[22:23]
	s_waitcnt vmcnt(0) lgkmcnt(0)
	v_dual_mov_b32 v23, s11 :: v_dual_and_b32 v22, 0xffff, v9
	s_delay_alu instid0(VALU_DEP_1) | instskip(SKIP_3) | instid1(VALU_DEP_1)
	v_lshlrev_b64 v[22:23], s0, v[22:23]
	s_add_u32 s0, s0, 8
	s_addc_u32 s1, s1, 0
	s_or_b32 s13, vcc_lo, s13
	v_or_b32_e32 v20, v23, v20
	s_delay_alu instid0(VALU_DEP_2)
	v_or_b32_e32 v19, v22, v19
	s_and_not1_b32 exec_lo, exec_lo, s13
	s_cbranch_execnz .LBB9_38
; %bb.39:                               ;   in Loop: Header=BB9_3 Depth=1
	s_or_b32 exec_lo, exec_lo, s13
.LBB9_40:                               ;   in Loop: Header=BB9_3 Depth=1
	s_delay_alu instid0(SALU_CYCLE_1)
	s_or_b32 exec_lo, exec_lo, s7
	s_mov_b32 s1, 0
                                        ; implicit-def: $vgpr21
.LBB9_41:                               ;   in Loop: Header=BB9_3 Depth=1
	s_or_saveexec_b32 s0, s6
	v_mov_b32_e32 v9, s1
	s_xor_b32 exec_lo, exec_lo, s0
	s_cbranch_execz .LBB9_43
; %bb.42:                               ;   in Loop: Header=BB9_3 Depth=1
	flat_load_b64 v[19:20], v[25:26]
	v_add_co_u32 v25, vcc_lo, v25, 8
	v_add_co_ci_u32_e32 v26, vcc_lo, 0, v26, vcc_lo
	s_waitcnt vmcnt(0) lgkmcnt(0)
	v_and_b32_e32 v9, 0xff, v20
	v_and_b32_e32 v22, 0xff00, v20
	;; [unrolled: 1-line block ×4, first 2 shown]
	v_or3_b32 v19, v19, 0, 0
	s_delay_alu instid0(VALU_DEP_4) | instskip(SKIP_1) | instid1(VALU_DEP_2)
	v_or_b32_e32 v22, v9, v22
	v_add_nc_u32_e32 v9, -8, v21
	v_or3_b32 v20, v22, v23, v20
.LBB9_43:                               ;   in Loop: Header=BB9_3 Depth=1
	s_or_b32 exec_lo, exec_lo, s0
                                        ; implicit-def: $vgpr21_vgpr22
                                        ; implicit-def: $sgpr1
	s_delay_alu instid0(SALU_CYCLE_1) | instskip(NEXT) | instid1(VALU_DEP_1)
	s_mov_b32 s0, exec_lo
	v_cmpx_gt_u32_e32 8, v9
	s_xor_b32 s6, exec_lo, s0
	s_cbranch_execz .LBB9_49
; %bb.44:                               ;   in Loop: Header=BB9_3 Depth=1
	v_mov_b32_e32 v21, 0
	v_mov_b32_e32 v22, 0
	s_mov_b32 s7, exec_lo
	v_cmpx_ne_u32_e32 0, v9
	s_cbranch_execz .LBB9_48
; %bb.45:                               ;   in Loop: Header=BB9_3 Depth=1
	v_mov_b32_e32 v21, 0
	v_mov_b32_e32 v22, 0
	s_mov_b64 s[0:1], 0
	s_mov_b32 s13, 0
	s_mov_b64 s[4:5], 0
	.p2align	6
.LBB9_46:                               ;   Parent Loop BB9_3 Depth=1
                                        ; =>  This Inner Loop Header: Depth=2
	s_delay_alu instid0(SALU_CYCLE_1)
	v_add_co_u32 v23, vcc_lo, v25, s4
	v_add_co_ci_u32_e32 v24, vcc_lo, s5, v26, vcc_lo
	s_add_u32 s4, s4, 1
	s_addc_u32 s5, s5, 0
	v_cmp_eq_u32_e32 vcc_lo, s4, v9
	flat_load_u8 v23, v[23:24]
	s_waitcnt vmcnt(0) lgkmcnt(0)
	v_dual_mov_b32 v24, s11 :: v_dual_and_b32 v23, 0xffff, v23
	s_delay_alu instid0(VALU_DEP_1) | instskip(SKIP_3) | instid1(VALU_DEP_1)
	v_lshlrev_b64 v[23:24], s0, v[23:24]
	s_add_u32 s0, s0, 8
	s_addc_u32 s1, s1, 0
	s_or_b32 s13, vcc_lo, s13
	v_or_b32_e32 v22, v24, v22
	s_delay_alu instid0(VALU_DEP_2)
	v_or_b32_e32 v21, v23, v21
	s_and_not1_b32 exec_lo, exec_lo, s13
	s_cbranch_execnz .LBB9_46
; %bb.47:                               ;   in Loop: Header=BB9_3 Depth=1
	s_or_b32 exec_lo, exec_lo, s13
.LBB9_48:                               ;   in Loop: Header=BB9_3 Depth=1
	s_delay_alu instid0(SALU_CYCLE_1)
	s_or_b32 exec_lo, exec_lo, s7
	s_mov_b32 s1, 0
                                        ; implicit-def: $vgpr9
.LBB9_49:                               ;   in Loop: Header=BB9_3 Depth=1
	s_or_saveexec_b32 s0, s6
	v_mov_b32_e32 v27, s1
	s_xor_b32 exec_lo, exec_lo, s0
	s_cbranch_execz .LBB9_51
; %bb.50:                               ;   in Loop: Header=BB9_3 Depth=1
	flat_load_b64 v[21:22], v[25:26]
	v_add_co_u32 v25, vcc_lo, v25, 8
	v_add_nc_u32_e32 v27, -8, v9
	v_add_co_ci_u32_e32 v26, vcc_lo, 0, v26, vcc_lo
	s_waitcnt vmcnt(0) lgkmcnt(0)
	v_and_b32_e32 v23, 0xff, v22
	v_and_b32_e32 v24, 0xff00, v22
	;; [unrolled: 1-line block ×4, first 2 shown]
	v_or3_b32 v21, v21, 0, 0
	s_delay_alu instid0(VALU_DEP_4) | instskip(NEXT) | instid1(VALU_DEP_1)
	v_or_b32_e32 v23, v23, v24
	v_or3_b32 v22, v23, v28, v22
.LBB9_51:                               ;   in Loop: Header=BB9_3 Depth=1
	s_or_b32 exec_lo, exec_lo, s0
	s_delay_alu instid0(SALU_CYCLE_1)
	s_mov_b32 s0, exec_lo
	v_cmpx_gt_u32_e32 8, v27
	s_xor_b32 s4, exec_lo, s0
	s_cbranch_execz .LBB9_57
; %bb.52:                               ;   in Loop: Header=BB9_3 Depth=1
	v_mov_b32_e32 v23, 0
	v_mov_b32_e32 v24, 0
	s_mov_b32 s5, exec_lo
	v_cmpx_ne_u32_e32 0, v27
	s_cbranch_execz .LBB9_56
; %bb.53:                               ;   in Loop: Header=BB9_3 Depth=1
	v_mov_b32_e32 v23, 0
	v_mov_b32_e32 v24, 0
	s_mov_b64 s[0:1], 0
	s_mov_b32 s6, 0
	.p2align	6
.LBB9_54:                               ;   Parent Loop BB9_3 Depth=1
                                        ; =>  This Inner Loop Header: Depth=2
	flat_load_u8 v9, v[25:26]
	v_dual_mov_b32 v32, s11 :: v_dual_add_nc_u32 v27, -1, v27
	v_add_co_u32 v25, vcc_lo, v25, 1
	v_add_co_ci_u32_e32 v26, vcc_lo, 0, v26, vcc_lo
	s_delay_alu instid0(VALU_DEP_3) | instskip(SKIP_2) | instid1(VALU_DEP_1)
	v_cmp_eq_u32_e32 vcc_lo, 0, v27
	s_waitcnt vmcnt(0) lgkmcnt(0)
	v_and_b32_e32 v31, 0xffff, v9
	v_lshlrev_b64 v[31:32], s0, v[31:32]
	s_add_u32 s0, s0, 8
	s_addc_u32 s1, s1, 0
	s_or_b32 s6, vcc_lo, s6
	s_delay_alu instid0(VALU_DEP_1) | instskip(NEXT) | instid1(VALU_DEP_2)
	v_or_b32_e32 v24, v32, v24
	v_or_b32_e32 v23, v31, v23
	s_and_not1_b32 exec_lo, exec_lo, s6
	s_cbranch_execnz .LBB9_54
; %bb.55:                               ;   in Loop: Header=BB9_3 Depth=1
	s_or_b32 exec_lo, exec_lo, s6
.LBB9_56:                               ;   in Loop: Header=BB9_3 Depth=1
	s_delay_alu instid0(SALU_CYCLE_1)
	s_or_b32 exec_lo, exec_lo, s5
                                        ; implicit-def: $vgpr25_vgpr26
.LBB9_57:                               ;   in Loop: Header=BB9_3 Depth=1
	s_and_not1_saveexec_b32 s0, s4
	s_cbranch_execz .LBB9_59
; %bb.58:                               ;   in Loop: Header=BB9_3 Depth=1
	flat_load_b64 v[23:24], v[25:26]
	s_waitcnt vmcnt(0) lgkmcnt(0)
	v_and_b32_e32 v9, 0xff, v24
	v_and_b32_e32 v25, 0xff00, v24
	;; [unrolled: 1-line block ×4, first 2 shown]
	v_or3_b32 v23, v23, 0, 0
	s_delay_alu instid0(VALU_DEP_4) | instskip(NEXT) | instid1(VALU_DEP_1)
	v_or_b32_e32 v9, v9, v25
	v_or3_b32 v24, v9, v26, v24
.LBB9_59:                               ;   in Loop: Header=BB9_3 Depth=1
	s_or_b32 exec_lo, exec_lo, s0
	v_readfirstlane_b32 s0, v33
	v_mov_b32_e32 v31, 0
	v_mov_b32_e32 v32, 0
	s_delay_alu instid0(VALU_DEP_3) | instskip(NEXT) | instid1(VALU_DEP_1)
	v_cmp_eq_u32_e64 s0, s0, v33
	s_and_saveexec_b32 s1, s0
	s_cbranch_execz .LBB9_65
; %bb.60:                               ;   in Loop: Header=BB9_3 Depth=1
	s_waitcnt lgkmcnt(0)
	global_load_b64 v[27:28], v10, s[2:3] offset:24 glc
	s_waitcnt vmcnt(0)
	buffer_gl1_inv
	buffer_gl0_inv
	s_clause 0x1
	global_load_b64 v[25:26], v10, s[2:3] offset:40
	global_load_b64 v[31:32], v10, s[2:3]
	s_mov_b32 s4, exec_lo
	s_waitcnt vmcnt(1)
	v_and_b32_e32 v9, v26, v28
	v_and_b32_e32 v25, v25, v27
	s_delay_alu instid0(VALU_DEP_2) | instskip(NEXT) | instid1(VALU_DEP_2)
	v_mul_lo_u32 v9, v9, 24
	v_mul_hi_u32 v26, v25, 24
	v_mul_lo_u32 v25, v25, 24
	s_delay_alu instid0(VALU_DEP_2) | instskip(SKIP_1) | instid1(VALU_DEP_2)
	v_add_nc_u32_e32 v9, v26, v9
	s_waitcnt vmcnt(0)
	v_add_co_u32 v25, vcc_lo, v31, v25
	s_delay_alu instid0(VALU_DEP_2)
	v_add_co_ci_u32_e32 v26, vcc_lo, v32, v9, vcc_lo
	global_load_b64 v[25:26], v[25:26], off glc
	s_waitcnt vmcnt(0)
	global_atomic_cmpswap_b64 v[31:32], v10, v[25:28], s[2:3] offset:24 glc
	s_waitcnt vmcnt(0)
	buffer_gl1_inv
	buffer_gl0_inv
	v_cmpx_ne_u64_e64 v[31:32], v[27:28]
	s_cbranch_execz .LBB9_64
; %bb.61:                               ;   in Loop: Header=BB9_3 Depth=1
	s_mov_b32 s5, 0
	.p2align	6
.LBB9_62:                               ;   Parent Loop BB9_3 Depth=1
                                        ; =>  This Inner Loop Header: Depth=2
	s_sleep 1
	s_clause 0x1
	global_load_b64 v[25:26], v10, s[2:3] offset:40
	global_load_b64 v[34:35], v10, s[2:3]
	v_dual_mov_b32 v27, v31 :: v_dual_mov_b32 v28, v32
	s_waitcnt vmcnt(1)
	s_delay_alu instid0(VALU_DEP_1) | instskip(SKIP_1) | instid1(VALU_DEP_1)
	v_and_b32_e32 v9, v25, v27
	s_waitcnt vmcnt(0)
	v_mad_u64_u32 v[31:32], null, v9, 24, v[34:35]
	s_delay_alu instid0(VALU_DEP_1) | instskip(NEXT) | instid1(VALU_DEP_1)
	v_dual_mov_b32 v9, v32 :: v_dual_and_b32 v34, v26, v28
	v_mad_u64_u32 v[25:26], null, v34, 24, v[9:10]
	s_delay_alu instid0(VALU_DEP_1)
	v_mov_b32_e32 v32, v25
	global_load_b64 v[25:26], v[31:32], off glc
	s_waitcnt vmcnt(0)
	global_atomic_cmpswap_b64 v[31:32], v10, v[25:28], s[2:3] offset:24 glc
	s_waitcnt vmcnt(0)
	buffer_gl1_inv
	buffer_gl0_inv
	v_cmp_eq_u64_e32 vcc_lo, v[31:32], v[27:28]
	s_or_b32 s5, vcc_lo, s5
	s_delay_alu instid0(SALU_CYCLE_1)
	s_and_not1_b32 exec_lo, exec_lo, s5
	s_cbranch_execnz .LBB9_62
; %bb.63:                               ;   in Loop: Header=BB9_3 Depth=1
	s_or_b32 exec_lo, exec_lo, s5
.LBB9_64:                               ;   in Loop: Header=BB9_3 Depth=1
	s_delay_alu instid0(SALU_CYCLE_1)
	s_or_b32 exec_lo, exec_lo, s4
.LBB9_65:                               ;   in Loop: Header=BB9_3 Depth=1
	s_delay_alu instid0(SALU_CYCLE_1)
	s_or_b32 exec_lo, exec_lo, s1
	s_waitcnt lgkmcnt(0)
	s_clause 0x1
	global_load_b64 v[34:35], v10, s[2:3] offset:40
	global_load_b128 v[25:28], v10, s[2:3]
	v_readfirstlane_b32 s4, v31
	v_readfirstlane_b32 s5, v32
	s_mov_b32 s1, exec_lo
	s_waitcnt vmcnt(1)
	v_readfirstlane_b32 s6, v34
	v_readfirstlane_b32 s7, v35
	s_delay_alu instid0(VALU_DEP_1) | instskip(NEXT) | instid1(SALU_CYCLE_1)
	s_and_b64 s[6:7], s[4:5], s[6:7]
	s_mul_i32 s13, s7, 24
	s_mul_hi_u32 s14, s6, 24
	s_mul_i32 s15, s6, 24
	s_add_i32 s14, s14, s13
	s_waitcnt vmcnt(0)
	v_add_co_u32 v31, vcc_lo, v25, s15
	v_add_co_ci_u32_e32 v32, vcc_lo, s14, v26, vcc_lo
	s_and_saveexec_b32 s13, s0
	s_cbranch_execz .LBB9_67
; %bb.66:                               ;   in Loop: Header=BB9_3 Depth=1
	v_mov_b32_e32 v9, s1
	global_store_b128 v[31:32], v[9:12], off offset:8
.LBB9_67:                               ;   in Loop: Header=BB9_3 Depth=1
	s_or_b32 exec_lo, exec_lo, s13
	v_cmp_lt_u64_e32 vcc_lo, 56, v[4:5]
	v_or_b32_e32 v9, 0, v1
	v_or_b32_e32 v34, v0, v6
	v_lshl_add_u32 v35, v29, 2, 28
	s_lshl_b64 s[6:7], s[6:7], 12
	s_delay_alu instid0(SALU_CYCLE_1) | instskip(NEXT) | instid1(VALU_DEP_1)
	v_add_co_u32 v27, s1, v27, s6
	v_add_co_ci_u32_e64 v28, s1, s7, v28, s1
	v_dual_cndmask_b32 v1, v9, v1 :: v_dual_cndmask_b32 v0, v34, v0
	v_and_b32_e32 v9, 0x1e0, v35
	v_lshlrev_b32_e32 v34, 6, v33
	v_readfirstlane_b32 s6, v27
	v_readfirstlane_b32 s7, v28
	s_delay_alu instid0(VALU_DEP_4)
	v_and_or_b32 v0, 0xffffff1f, v0, v9
	s_clause 0x3
	global_store_b128 v34, v[0:3], s[6:7]
	global_store_b128 v34, v[13:16], s[6:7] offset:16
	global_store_b128 v34, v[17:20], s[6:7] offset:32
	;; [unrolled: 1-line block ×3, first 2 shown]
	s_and_saveexec_b32 s1, s0
	s_cbranch_execz .LBB9_75
; %bb.68:                               ;   in Loop: Header=BB9_3 Depth=1
	s_clause 0x1
	global_load_b64 v[17:18], v10, s[2:3] offset:32 glc
	global_load_b64 v[0:1], v10, s[2:3] offset:40
	v_dual_mov_b32 v15, s4 :: v_dual_mov_b32 v16, s5
	s_waitcnt vmcnt(0)
	v_readfirstlane_b32 s6, v0
	v_readfirstlane_b32 s7, v1
	s_delay_alu instid0(VALU_DEP_1) | instskip(NEXT) | instid1(SALU_CYCLE_1)
	s_and_b64 s[6:7], s[6:7], s[4:5]
	s_mul_i32 s7, s7, 24
	s_mul_hi_u32 s13, s6, 24
	s_mul_i32 s6, s6, 24
	s_add_i32 s13, s13, s7
	v_add_co_u32 v13, vcc_lo, v25, s6
	v_add_co_ci_u32_e32 v14, vcc_lo, s13, v26, vcc_lo
	s_mov_b32 s6, exec_lo
	global_store_b64 v[13:14], v[17:18], off
	s_waitcnt_vscnt null, 0x0
	global_atomic_cmpswap_b64 v[2:3], v10, v[15:18], s[2:3] offset:32 glc
	s_waitcnt vmcnt(0)
	v_cmpx_ne_u64_e64 v[2:3], v[17:18]
	s_cbranch_execz .LBB9_71
; %bb.69:                               ;   in Loop: Header=BB9_3 Depth=1
	s_mov_b32 s7, 0
.LBB9_70:                               ;   Parent Loop BB9_3 Depth=1
                                        ; =>  This Inner Loop Header: Depth=2
	v_dual_mov_b32 v0, s4 :: v_dual_mov_b32 v1, s5
	s_sleep 1
	global_store_b64 v[13:14], v[2:3], off
	s_waitcnt_vscnt null, 0x0
	global_atomic_cmpswap_b64 v[0:1], v10, v[0:3], s[2:3] offset:32 glc
	s_waitcnt vmcnt(0)
	v_cmp_eq_u64_e32 vcc_lo, v[0:1], v[2:3]
	v_dual_mov_b32 v3, v1 :: v_dual_mov_b32 v2, v0
	s_or_b32 s7, vcc_lo, s7
	s_delay_alu instid0(SALU_CYCLE_1)
	s_and_not1_b32 exec_lo, exec_lo, s7
	s_cbranch_execnz .LBB9_70
.LBB9_71:                               ;   in Loop: Header=BB9_3 Depth=1
	s_or_b32 exec_lo, exec_lo, s6
	global_load_b64 v[0:1], v10, s[2:3] offset:16
	s_mov_b32 s7, exec_lo
	s_mov_b32 s6, exec_lo
	v_mbcnt_lo_u32_b32 v2, s7, 0
	s_delay_alu instid0(VALU_DEP_1)
	v_cmpx_eq_u32_e32 0, v2
	s_cbranch_execz .LBB9_73
; %bb.72:                               ;   in Loop: Header=BB9_3 Depth=1
	s_bcnt1_i32_b32 s7, s7
	s_delay_alu instid0(SALU_CYCLE_1)
	v_mov_b32_e32 v9, s7
	s_waitcnt vmcnt(0)
	global_atomic_add_u64 v[0:1], v[9:10], off offset:8
.LBB9_73:                               ;   in Loop: Header=BB9_3 Depth=1
	s_or_b32 exec_lo, exec_lo, s6
	s_waitcnt vmcnt(0)
	global_load_b64 v[2:3], v[0:1], off offset:16
	s_waitcnt vmcnt(0)
	v_cmp_eq_u64_e32 vcc_lo, 0, v[2:3]
	s_cbranch_vccnz .LBB9_75
; %bb.74:                               ;   in Loop: Header=BB9_3 Depth=1
	global_load_b32 v9, v[0:1], off offset:24
	s_waitcnt vmcnt(0)
	v_and_b32_e32 v0, 0xffffff, v9
	s_waitcnt_vscnt null, 0x0
	global_store_b64 v[2:3], v[9:10], off
	v_readfirstlane_b32 m0, v0
	s_sendmsg sendmsg(MSG_INTERRUPT)
.LBB9_75:                               ;   in Loop: Header=BB9_3 Depth=1
	s_or_b32 exec_lo, exec_lo, s1
	v_add_co_u32 v0, vcc_lo, v27, v34
	v_add_co_ci_u32_e32 v1, vcc_lo, 0, v28, vcc_lo
	s_branch .LBB9_79
	.p2align	6
.LBB9_76:                               ;   in Loop: Header=BB9_79 Depth=2
	s_or_b32 exec_lo, exec_lo, s1
	s_delay_alu instid0(VALU_DEP_1) | instskip(NEXT) | instid1(VALU_DEP_1)
	v_readfirstlane_b32 s1, v2
	s_cmp_eq_u32 s1, 0
	s_cbranch_scc1 .LBB9_78
; %bb.77:                               ;   in Loop: Header=BB9_79 Depth=2
	s_sleep 1
	s_cbranch_execnz .LBB9_79
	s_branch .LBB9_81
	.p2align	6
.LBB9_78:                               ;   in Loop: Header=BB9_3 Depth=1
	s_branch .LBB9_81
.LBB9_79:                               ;   Parent Loop BB9_3 Depth=1
                                        ; =>  This Inner Loop Header: Depth=2
	v_mov_b32_e32 v2, 1
	s_and_saveexec_b32 s1, s0
	s_cbranch_execz .LBB9_76
; %bb.80:                               ;   in Loop: Header=BB9_79 Depth=2
	global_load_b32 v2, v[31:32], off offset:20 glc
	s_waitcnt vmcnt(0)
	buffer_gl1_inv
	buffer_gl0_inv
	v_and_b32_e32 v2, 1, v2
	s_branch .LBB9_76
.LBB9_81:                               ;   in Loop: Header=BB9_3 Depth=1
	global_load_b128 v[0:3], v[0:1], off
	s_and_saveexec_b32 s1, s0
	s_cbranch_execz .LBB9_2
; %bb.82:                               ;   in Loop: Header=BB9_3 Depth=1
	s_clause 0x2
	global_load_b64 v[2:3], v10, s[2:3] offset:40
	global_load_b64 v[17:18], v10, s[2:3] offset:24 glc
	global_load_b64 v[15:16], v10, s[2:3]
	s_waitcnt vmcnt(2)
	v_add_co_u32 v9, vcc_lo, v2, 1
	v_add_co_ci_u32_e32 v19, vcc_lo, 0, v3, vcc_lo
	s_delay_alu instid0(VALU_DEP_2) | instskip(NEXT) | instid1(VALU_DEP_2)
	v_add_co_u32 v13, vcc_lo, v9, s4
	v_add_co_ci_u32_e32 v14, vcc_lo, s5, v19, vcc_lo
	s_delay_alu instid0(VALU_DEP_1) | instskip(SKIP_1) | instid1(VALU_DEP_1)
	v_cmp_eq_u64_e32 vcc_lo, 0, v[13:14]
	v_dual_cndmask_b32 v14, v14, v19 :: v_dual_cndmask_b32 v13, v13, v9
	v_and_b32_e32 v3, v14, v3
	s_delay_alu instid0(VALU_DEP_2) | instskip(NEXT) | instid1(VALU_DEP_2)
	v_and_b32_e32 v2, v13, v2
	v_mul_lo_u32 v3, v3, 24
	s_delay_alu instid0(VALU_DEP_2) | instskip(SKIP_1) | instid1(VALU_DEP_2)
	v_mul_hi_u32 v9, v2, 24
	v_mul_lo_u32 v2, v2, 24
	v_add_nc_u32_e32 v3, v9, v3
	s_waitcnt vmcnt(0)
	s_delay_alu instid0(VALU_DEP_2) | instskip(SKIP_1) | instid1(VALU_DEP_3)
	v_add_co_u32 v2, vcc_lo, v15, v2
	v_mov_b32_e32 v15, v17
	v_add_co_ci_u32_e32 v3, vcc_lo, v16, v3, vcc_lo
	v_mov_b32_e32 v16, v18
	global_store_b64 v[2:3], v[17:18], off
	s_waitcnt_vscnt null, 0x0
	global_atomic_cmpswap_b64 v[15:16], v10, v[13:16], s[2:3] offset:24 glc
	s_waitcnt vmcnt(0)
	v_cmp_ne_u64_e32 vcc_lo, v[15:16], v[17:18]
	s_and_b32 exec_lo, exec_lo, vcc_lo
	s_cbranch_execz .LBB9_2
; %bb.83:                               ;   in Loop: Header=BB9_3 Depth=1
	s_mov_b32 s0, 0
.LBB9_84:                               ;   Parent Loop BB9_3 Depth=1
                                        ; =>  This Inner Loop Header: Depth=2
	s_sleep 1
	global_store_b64 v[2:3], v[15:16], off
	s_waitcnt_vscnt null, 0x0
	global_atomic_cmpswap_b64 v[17:18], v10, v[13:16], s[2:3] offset:24 glc
	s_waitcnt vmcnt(0)
	v_cmp_eq_u64_e32 vcc_lo, v[17:18], v[15:16]
	v_dual_mov_b32 v15, v17 :: v_dual_mov_b32 v16, v18
	s_or_b32 s0, vcc_lo, s0
	s_delay_alu instid0(SALU_CYCLE_1)
	s_and_not1_b32 exec_lo, exec_lo, s0
	s_cbranch_execnz .LBB9_84
	s_branch .LBB9_2
.LBB9_85:
	s_or_b32 exec_lo, exec_lo, s12
                                        ; implicit-def: $vgpr0
                                        ; implicit-def: $vgpr33
                                        ; implicit-def: $vgpr1
.LBB9_86:
	s_and_not1_saveexec_b32 s1, s10
	s_cbranch_execz .LBB9_108
; %bb.87:
	s_load_b64 s[2:3], s[8:9], 0x50
	v_readfirstlane_b32 s0, v33
	v_mov_b32_e32 v8, 0
	v_mov_b32_e32 v9, 0
	s_delay_alu instid0(VALU_DEP_3) | instskip(NEXT) | instid1(VALU_DEP_1)
	v_cmp_eq_u32_e64 s0, s0, v33
	s_and_saveexec_b32 s4, s0
	s_cbranch_execz .LBB9_93
; %bb.88:
	s_waitcnt vmcnt(0)
	v_mov_b32_e32 v2, 0
	s_mov_b32 s5, exec_lo
	s_waitcnt lgkmcnt(0)
	global_load_b64 v[5:6], v2, s[2:3] offset:24 glc
	s_waitcnt vmcnt(0)
	buffer_gl1_inv
	buffer_gl0_inv
	s_clause 0x1
	global_load_b64 v[3:4], v2, s[2:3] offset:40
	global_load_b64 v[7:8], v2, s[2:3]
	s_waitcnt vmcnt(1)
	v_and_b32_e32 v3, v3, v5
	v_and_b32_e32 v4, v4, v6
	s_delay_alu instid0(VALU_DEP_2) | instskip(NEXT) | instid1(VALU_DEP_2)
	v_mul_hi_u32 v9, v3, 24
	v_mul_lo_u32 v4, v4, 24
	v_mul_lo_u32 v3, v3, 24
	s_delay_alu instid0(VALU_DEP_2) | instskip(SKIP_1) | instid1(VALU_DEP_2)
	v_add_nc_u32_e32 v4, v9, v4
	s_waitcnt vmcnt(0)
	v_add_co_u32 v3, vcc_lo, v7, v3
	s_delay_alu instid0(VALU_DEP_2)
	v_add_co_ci_u32_e32 v4, vcc_lo, v8, v4, vcc_lo
	global_load_b64 v[3:4], v[3:4], off glc
	s_waitcnt vmcnt(0)
	global_atomic_cmpswap_b64 v[8:9], v2, v[3:6], s[2:3] offset:24 glc
	s_waitcnt vmcnt(0)
	buffer_gl1_inv
	buffer_gl0_inv
	v_cmpx_ne_u64_e64 v[8:9], v[5:6]
	s_cbranch_execz .LBB9_92
; %bb.89:
	s_mov_b32 s6, 0
	.p2align	6
.LBB9_90:                               ; =>This Inner Loop Header: Depth=1
	s_sleep 1
	s_clause 0x1
	global_load_b64 v[3:4], v2, s[2:3] offset:40
	global_load_b64 v[10:11], v2, s[2:3]
	v_dual_mov_b32 v5, v8 :: v_dual_mov_b32 v6, v9
	s_waitcnt vmcnt(1)
	s_delay_alu instid0(VALU_DEP_1) | instskip(NEXT) | instid1(VALU_DEP_2)
	v_and_b32_e32 v3, v3, v5
	v_and_b32_e32 v4, v4, v6
	s_waitcnt vmcnt(0)
	s_delay_alu instid0(VALU_DEP_2) | instskip(NEXT) | instid1(VALU_DEP_1)
	v_mad_u64_u32 v[7:8], null, v3, 24, v[10:11]
	v_mov_b32_e32 v3, v8
	s_delay_alu instid0(VALU_DEP_1)
	v_mad_u64_u32 v[8:9], null, v4, 24, v[3:4]
	global_load_b64 v[3:4], v[7:8], off glc
	s_waitcnt vmcnt(0)
	global_atomic_cmpswap_b64 v[8:9], v2, v[3:6], s[2:3] offset:24 glc
	s_waitcnt vmcnt(0)
	buffer_gl1_inv
	buffer_gl0_inv
	v_cmp_eq_u64_e32 vcc_lo, v[8:9], v[5:6]
	s_or_b32 s6, vcc_lo, s6
	s_delay_alu instid0(SALU_CYCLE_1)
	s_and_not1_b32 exec_lo, exec_lo, s6
	s_cbranch_execnz .LBB9_90
; %bb.91:
	s_or_b32 exec_lo, exec_lo, s6
.LBB9_92:
	s_delay_alu instid0(SALU_CYCLE_1)
	s_or_b32 exec_lo, exec_lo, s5
.LBB9_93:
	s_delay_alu instid0(SALU_CYCLE_1)
	s_or_b32 exec_lo, exec_lo, s4
	s_waitcnt vmcnt(0)
	v_mov_b32_e32 v2, 0
	v_readfirstlane_b32 s4, v8
	v_readfirstlane_b32 s5, v9
	s_mov_b32 s8, exec_lo
	s_waitcnt lgkmcnt(0)
	s_clause 0x1
	global_load_b64 v[10:11], v2, s[2:3] offset:40
	global_load_b128 v[4:7], v2, s[2:3]
	s_waitcnt vmcnt(1)
	v_readfirstlane_b32 s6, v10
	v_readfirstlane_b32 s7, v11
	s_delay_alu instid0(VALU_DEP_1) | instskip(NEXT) | instid1(SALU_CYCLE_1)
	s_and_b64 s[6:7], s[4:5], s[6:7]
	s_mul_i32 s9, s7, 24
	s_mul_hi_u32 s10, s6, 24
	s_mul_i32 s11, s6, 24
	s_add_i32 s10, s10, s9
	s_waitcnt vmcnt(0)
	v_add_co_u32 v8, vcc_lo, v4, s11
	v_add_co_ci_u32_e32 v9, vcc_lo, s10, v5, vcc_lo
	s_and_saveexec_b32 s9, s0
	s_cbranch_execz .LBB9_95
; %bb.94:
	v_dual_mov_b32 v10, s8 :: v_dual_mov_b32 v11, v2
	v_dual_mov_b32 v12, 2 :: v_dual_mov_b32 v13, 1
	global_store_b128 v[8:9], v[10:13], off offset:8
.LBB9_95:
	s_or_b32 exec_lo, exec_lo, s9
	s_lshl_b64 s[6:7], s[6:7], 12
	s_mov_b32 s8, 0
	v_add_co_u32 v6, vcc_lo, v6, s6
	v_add_co_ci_u32_e32 v7, vcc_lo, s7, v7, vcc_lo
	s_mov_b32 s11, s8
	s_mov_b32 s9, s8
	;; [unrolled: 1-line block ×3, first 2 shown]
	v_and_or_b32 v0, 0xffffff1f, v0, 32
	v_dual_mov_b32 v3, v2 :: v_dual_lshlrev_b32 v14, 6, v33
	v_readfirstlane_b32 s6, v6
	v_readfirstlane_b32 s7, v7
	v_dual_mov_b32 v13, s11 :: v_dual_mov_b32 v12, s10
	v_dual_mov_b32 v11, s9 :: v_dual_mov_b32 v10, s8
	s_clause 0x3
	global_store_b128 v14, v[0:3], s[6:7]
	global_store_b128 v14, v[10:13], s[6:7] offset:16
	global_store_b128 v14, v[10:13], s[6:7] offset:32
	;; [unrolled: 1-line block ×3, first 2 shown]
	s_and_saveexec_b32 s6, s0
	s_cbranch_execz .LBB9_102
; %bb.96:
	v_mov_b32_e32 v6, 0
	s_mov_b32 s7, exec_lo
	s_clause 0x1
	global_load_b64 v[12:13], v6, s[2:3] offset:32 glc
	global_load_b64 v[0:1], v6, s[2:3] offset:40
	v_dual_mov_b32 v11, s5 :: v_dual_mov_b32 v10, s4
	s_waitcnt vmcnt(0)
	v_and_b32_e32 v1, s5, v1
	v_and_b32_e32 v0, s4, v0
	s_delay_alu instid0(VALU_DEP_2) | instskip(NEXT) | instid1(VALU_DEP_2)
	v_mul_lo_u32 v1, v1, 24
	v_mul_hi_u32 v2, v0, 24
	v_mul_lo_u32 v0, v0, 24
	s_delay_alu instid0(VALU_DEP_2) | instskip(NEXT) | instid1(VALU_DEP_2)
	v_add_nc_u32_e32 v1, v2, v1
	v_add_co_u32 v4, vcc_lo, v4, v0
	s_delay_alu instid0(VALU_DEP_2)
	v_add_co_ci_u32_e32 v5, vcc_lo, v5, v1, vcc_lo
	global_store_b64 v[4:5], v[12:13], off
	s_waitcnt_vscnt null, 0x0
	global_atomic_cmpswap_b64 v[2:3], v6, v[10:13], s[2:3] offset:32 glc
	s_waitcnt vmcnt(0)
	v_cmpx_ne_u64_e64 v[2:3], v[12:13]
	s_cbranch_execz .LBB9_98
.LBB9_97:                               ; =>This Inner Loop Header: Depth=1
	v_dual_mov_b32 v0, s4 :: v_dual_mov_b32 v1, s5
	s_sleep 1
	global_store_b64 v[4:5], v[2:3], off
	s_waitcnt_vscnt null, 0x0
	global_atomic_cmpswap_b64 v[0:1], v6, v[0:3], s[2:3] offset:32 glc
	s_waitcnt vmcnt(0)
	v_cmp_eq_u64_e32 vcc_lo, v[0:1], v[2:3]
	v_dual_mov_b32 v3, v1 :: v_dual_mov_b32 v2, v0
	s_or_b32 s8, vcc_lo, s8
	s_delay_alu instid0(SALU_CYCLE_1)
	s_and_not1_b32 exec_lo, exec_lo, s8
	s_cbranch_execnz .LBB9_97
.LBB9_98:
	s_or_b32 exec_lo, exec_lo, s7
	v_mov_b32_e32 v3, 0
	s_mov_b32 s8, exec_lo
	s_mov_b32 s7, exec_lo
	v_mbcnt_lo_u32_b32 v2, s8, 0
	global_load_b64 v[0:1], v3, s[2:3] offset:16
	v_cmpx_eq_u32_e32 0, v2
	s_cbranch_execz .LBB9_100
; %bb.99:
	s_bcnt1_i32_b32 s8, s8
	s_delay_alu instid0(SALU_CYCLE_1)
	v_mov_b32_e32 v2, s8
	s_waitcnt vmcnt(0)
	global_atomic_add_u64 v[0:1], v[2:3], off offset:8
.LBB9_100:
	s_or_b32 exec_lo, exec_lo, s7
	s_waitcnt vmcnt(0)
	global_load_b64 v[2:3], v[0:1], off offset:16
	s_waitcnt vmcnt(0)
	v_cmp_eq_u64_e32 vcc_lo, 0, v[2:3]
	s_cbranch_vccnz .LBB9_102
; %bb.101:
	global_load_b32 v0, v[0:1], off offset:24
	s_waitcnt vmcnt(0)
	v_dual_mov_b32 v1, 0 :: v_dual_and_b32 v4, 0xffffff, v0
	s_waitcnt_vscnt null, 0x0
	global_store_b64 v[2:3], v[0:1], off
	v_readfirstlane_b32 m0, v4
	s_sendmsg sendmsg(MSG_INTERRUPT)
.LBB9_102:
	s_or_b32 exec_lo, exec_lo, s6
	s_branch .LBB9_106
	.p2align	6
.LBB9_103:                              ;   in Loop: Header=BB9_106 Depth=1
	s_or_b32 exec_lo, exec_lo, s6
	s_delay_alu instid0(VALU_DEP_1) | instskip(NEXT) | instid1(VALU_DEP_1)
	v_readfirstlane_b32 s6, v0
	s_cmp_eq_u32 s6, 0
	s_cbranch_scc1 .LBB9_105
; %bb.104:                              ;   in Loop: Header=BB9_106 Depth=1
	s_sleep 1
	s_cbranch_execnz .LBB9_106
	s_branch .LBB9_109
	.p2align	6
.LBB9_105:
	s_branch .LBB9_109
.LBB9_106:                              ; =>This Inner Loop Header: Depth=1
	v_mov_b32_e32 v0, 1
	s_and_saveexec_b32 s6, s0
	s_cbranch_execz .LBB9_103
; %bb.107:                              ;   in Loop: Header=BB9_106 Depth=1
	global_load_b32 v0, v[8:9], off offset:20 glc
	s_waitcnt vmcnt(0)
	buffer_gl1_inv
	buffer_gl0_inv
	v_and_b32_e32 v0, 1, v0
	s_branch .LBB9_103
.LBB9_108:
	s_or_b32 exec_lo, exec_lo, s1
	s_waitcnt vmcnt(0) lgkmcnt(0)
	s_setpc_b64 s[30:31]
.LBB9_109:
	s_and_saveexec_b32 s6, s0
	s_cbranch_execz .LBB9_113
; %bb.110:
	v_mov_b32_e32 v6, 0
	s_clause 0x2
	global_load_b64 v[2:3], v6, s[2:3] offset:40
	global_load_b64 v[7:8], v6, s[2:3] offset:24 glc
	global_load_b64 v[4:5], v6, s[2:3]
	s_waitcnt vmcnt(2)
	v_add_co_u32 v9, vcc_lo, v2, 1
	v_add_co_ci_u32_e32 v10, vcc_lo, 0, v3, vcc_lo
	s_delay_alu instid0(VALU_DEP_2) | instskip(NEXT) | instid1(VALU_DEP_2)
	v_add_co_u32 v0, vcc_lo, v9, s4
	v_add_co_ci_u32_e32 v1, vcc_lo, s5, v10, vcc_lo
	s_delay_alu instid0(VALU_DEP_1) | instskip(SKIP_1) | instid1(VALU_DEP_1)
	v_cmp_eq_u64_e32 vcc_lo, 0, v[0:1]
	v_dual_cndmask_b32 v1, v1, v10 :: v_dual_cndmask_b32 v0, v0, v9
	v_and_b32_e32 v3, v1, v3
	s_delay_alu instid0(VALU_DEP_2) | instskip(NEXT) | instid1(VALU_DEP_2)
	v_and_b32_e32 v2, v0, v2
	v_mul_lo_u32 v3, v3, 24
	s_delay_alu instid0(VALU_DEP_2) | instskip(SKIP_1) | instid1(VALU_DEP_2)
	v_mul_hi_u32 v9, v2, 24
	v_mul_lo_u32 v2, v2, 24
	v_add_nc_u32_e32 v3, v9, v3
	s_waitcnt vmcnt(0)
	s_delay_alu instid0(VALU_DEP_2) | instskip(SKIP_1) | instid1(VALU_DEP_3)
	v_add_co_u32 v4, vcc_lo, v4, v2
	v_mov_b32_e32 v2, v7
	v_add_co_ci_u32_e32 v5, vcc_lo, v5, v3, vcc_lo
	v_mov_b32_e32 v3, v8
	global_store_b64 v[4:5], v[7:8], off
	s_waitcnt_vscnt null, 0x0
	global_atomic_cmpswap_b64 v[2:3], v6, v[0:3], s[2:3] offset:24 glc
	s_waitcnt vmcnt(0)
	v_cmp_ne_u64_e32 vcc_lo, v[2:3], v[7:8]
	s_and_b32 exec_lo, exec_lo, vcc_lo
	s_cbranch_execz .LBB9_113
; %bb.111:
	s_mov_b32 s0, 0
.LBB9_112:                              ; =>This Inner Loop Header: Depth=1
	s_sleep 1
	global_store_b64 v[4:5], v[2:3], off
	s_waitcnt_vscnt null, 0x0
	global_atomic_cmpswap_b64 v[7:8], v6, v[0:3], s[2:3] offset:24 glc
	s_waitcnt vmcnt(0)
	v_cmp_eq_u64_e32 vcc_lo, v[7:8], v[2:3]
	v_dual_mov_b32 v2, v7 :: v_dual_mov_b32 v3, v8
	s_or_b32 s0, vcc_lo, s0
	s_delay_alu instid0(SALU_CYCLE_1)
	s_and_not1_b32 exec_lo, exec_lo, s0
	s_cbranch_execnz .LBB9_112
.LBB9_113:
	s_or_b32 exec_lo, exec_lo, s6
	s_delay_alu instid0(SALU_CYCLE_1)
	s_or_b32 exec_lo, exec_lo, s1
	s_waitcnt lgkmcnt(0)
	s_setpc_b64 s[30:31]
.Lfunc_end9:
	.size	__ockl_fprintf_append_string_n, .Lfunc_end9-__ockl_fprintf_append_string_n
                                        ; -- End function
	.section	.AMDGPU.csdata,"",@progbits
; Function info:
; codeLenInByte = 4740
; NumSgprs: 34
; NumVgprs: 36
; ScratchSize: 0
; MemoryBound: 0
	.text
	.p2align	2                               ; -- Begin function __assert_fail
	.type	__assert_fail,@function
__assert_fail:                          ; @__assert_fail
; %bb.0:
	s_waitcnt vmcnt(0) expcnt(0) lgkmcnt(0)
	s_mov_b32 s16, s33
	s_mov_b32 s33, s32
	s_or_saveexec_b32 s0, -1
	scratch_store_b32 off, v40, s33 offset:48 ; 4-byte Folded Spill
	s_mov_b32 exec_lo, s0
	v_writelane_b32 v40, s30, 0
	s_add_i32 s32, s32, 64
	v_writelane_b32 v40, s31, 1
	s_getpc_b64 s[0:1]
	s_add_u32 s0, s0, __const.__assert_fail.fmt@rel32@lo+4
	s_addc_u32 s1, s1, __const.__assert_fail.fmt@rel32@hi+12
	s_getpc_b64 s[2:3]
	s_add_u32 s2, s2, __const.__assert_fail.fmt@rel32@lo+20
	s_addc_u32 s3, s3, __const.__assert_fail.fmt@rel32@hi+28
	v_mbcnt_lo_u32_b32 v49, -1, 0
	s_clause 0x1
	s_load_b128 s[4:7], s[0:1], 0x0
	s_load_b128 s[12:15], s[2:3], 0x0
	s_load_b64 s[2:3], s[8:9], 0x50
	v_dual_mov_b32 v8, v1 :: v_dual_mov_b32 v7, v0
	v_dual_mov_b32 v9, 0 :: v_dual_mov_b32 v18, 0x73256020
	v_readfirstlane_b32 s0, v49
	v_mov_b32_e32 v21, 0xa2e
	v_mov_b32_e32 v19, 0x61662027
	;; [unrolled: 1-line block ×4, first 2 shown]
	v_cmp_eq_u32_e64 s0, s0, v49
	v_mov_b32_e32 v1, 0
	s_waitcnt lgkmcnt(0)
	v_mov_b32_e32 v13, s7
	v_mov_b32_e32 v17, s15
	v_dual_mov_b32 v15, s13 :: v_dual_mov_b32 v12, s6
	v_dual_mov_b32 v11, s5 :: v_dual_mov_b32 v14, s12
	v_mov_b32_e32 v10, s4
	v_mov_b32_e32 v16, s14
	s_clause 0x4
	scratch_store_b128 off, v[10:13], s33
	scratch_store_b128 off, v[14:17], s33 offset:16
	scratch_store_b8 off, v9, s33 offset:46
	scratch_store_b16 off, v21, s33 offset:44
	scratch_store_b96 off, v[18:20], s33 offset:32
	s_and_saveexec_b32 s1, s0
	s_cbranch_execz .LBB10_6
; %bb.1:
	global_load_b64 v[12:13], v9, s[2:3] offset:24 glc
	s_waitcnt vmcnt(0)
	buffer_gl1_inv
	buffer_gl0_inv
	s_clause 0x1
	global_load_b64 v[0:1], v9, s[2:3] offset:40
	global_load_b64 v[10:11], v9, s[2:3]
	s_mov_b32 s4, exec_lo
	s_waitcnt vmcnt(1)
	v_and_b32_e32 v1, v1, v13
	v_and_b32_e32 v0, v0, v12
	s_delay_alu instid0(VALU_DEP_2) | instskip(NEXT) | instid1(VALU_DEP_2)
	v_mul_lo_u32 v1, v1, 24
	v_mul_hi_u32 v14, v0, 24
	v_mul_lo_u32 v0, v0, 24
	s_delay_alu instid0(VALU_DEP_2) | instskip(SKIP_1) | instid1(VALU_DEP_2)
	v_add_nc_u32_e32 v1, v14, v1
	s_waitcnt vmcnt(0)
	v_add_co_u32 v0, vcc_lo, v10, v0
	s_delay_alu instid0(VALU_DEP_2)
	v_add_co_ci_u32_e32 v1, vcc_lo, v11, v1, vcc_lo
	global_load_b64 v[10:11], v[0:1], off glc
	s_waitcnt vmcnt(0)
	global_atomic_cmpswap_b64 v[0:1], v9, v[10:13], s[2:3] offset:24 glc
	s_waitcnt vmcnt(0)
	buffer_gl1_inv
	buffer_gl0_inv
	v_cmpx_ne_u64_e64 v[0:1], v[12:13]
	s_cbranch_execz .LBB10_5
; %bb.2:
	s_mov_b32 s5, 0
	.p2align	6
.LBB10_3:                               ; =>This Inner Loop Header: Depth=1
	s_sleep 1
	s_clause 0x1
	global_load_b64 v[10:11], v9, s[2:3] offset:40
	global_load_b64 v[14:15], v9, s[2:3]
	v_dual_mov_b32 v13, v1 :: v_dual_mov_b32 v12, v0
	s_waitcnt vmcnt(1)
	s_delay_alu instid0(VALU_DEP_1) | instskip(SKIP_1) | instid1(VALU_DEP_1)
	v_and_b32_e32 v10, v10, v12
	s_waitcnt vmcnt(0)
	v_mad_u64_u32 v[0:1], null, v10, 24, v[14:15]
	v_and_b32_e32 v14, v11, v13
	s_delay_alu instid0(VALU_DEP_1) | instskip(NEXT) | instid1(VALU_DEP_1)
	v_mad_u64_u32 v[10:11], null, v14, 24, v[1:2]
	v_mov_b32_e32 v1, v10
	global_load_b64 v[10:11], v[0:1], off glc
	s_waitcnt vmcnt(0)
	global_atomic_cmpswap_b64 v[0:1], v9, v[10:13], s[2:3] offset:24 glc
	s_waitcnt vmcnt(0)
	buffer_gl1_inv
	buffer_gl0_inv
	v_cmp_eq_u64_e32 vcc_lo, v[0:1], v[12:13]
	s_or_b32 s5, vcc_lo, s5
	s_delay_alu instid0(SALU_CYCLE_1)
	s_and_not1_b32 exec_lo, exec_lo, s5
	s_cbranch_execnz .LBB10_3
; %bb.4:
	s_or_b32 exec_lo, exec_lo, s5
.LBB10_5:
	s_delay_alu instid0(SALU_CYCLE_1)
	s_or_b32 exec_lo, exec_lo, s4
.LBB10_6:
	s_delay_alu instid0(SALU_CYCLE_1)
	s_or_b32 exec_lo, exec_lo, s1
	s_clause 0x1
	global_load_b64 v[10:11], v9, s[2:3] offset:40
	global_load_b128 v[13:16], v9, s[2:3]
	v_readfirstlane_b32 s4, v0
	v_readfirstlane_b32 s5, v1
	s_mov_b32 s1, exec_lo
	s_waitcnt vmcnt(1)
	v_readfirstlane_b32 s6, v10
	v_readfirstlane_b32 s7, v11
	s_delay_alu instid0(VALU_DEP_1) | instskip(NEXT) | instid1(SALU_CYCLE_1)
	s_and_b64 s[6:7], s[4:5], s[6:7]
	s_mul_i32 s10, s7, 24
	s_mul_hi_u32 s11, s6, 24
	s_mul_i32 s12, s6, 24
	s_add_i32 s11, s11, s10
	s_waitcnt vmcnt(0)
	v_add_co_u32 v0, vcc_lo, v13, s12
	v_add_co_ci_u32_e32 v1, vcc_lo, s11, v14, vcc_lo
	s_and_saveexec_b32 s10, s0
	s_cbranch_execz .LBB10_8
; %bb.7:
	v_dual_mov_b32 v9, s1 :: v_dual_mov_b32 v10, 0
	v_dual_mov_b32 v11, 2 :: v_dual_mov_b32 v12, 1
	global_store_b128 v[0:1], v[9:12], off offset:8
.LBB10_8:
	s_or_b32 exec_lo, exec_lo, s10
	s_lshl_b64 s[6:7], s[6:7], 12
	v_dual_mov_b32 v11, 1 :: v_dual_lshlrev_b32 v48, 6, v49
	v_add_co_u32 v15, vcc_lo, v15, s6
	v_add_co_ci_u32_e32 v16, vcc_lo, s7, v16, vcc_lo
	v_dual_mov_b32 v10, 0 :: v_dual_mov_b32 v9, 33
	s_mov_b32 s12, 0
	s_delay_alu instid0(VALU_DEP_3)
	v_readfirstlane_b32 s6, v15
	s_mov_b32 s15, s12
	v_add_co_u32 v15, vcc_lo, v15, v48
	s_mov_b32 s13, s12
	s_mov_b32 s14, s12
	v_mov_b32_e32 v12, v10
	v_readfirstlane_b32 s7, v16
	v_dual_mov_b32 v20, s15 :: v_dual_mov_b32 v17, s12
	v_add_co_ci_u32_e32 v16, vcc_lo, 0, v16, vcc_lo
	v_dual_mov_b32 v19, s14 :: v_dual_mov_b32 v18, s13
	s_clause 0x3
	global_store_b128 v48, v[9:12], s[6:7]
	global_store_b128 v48, v[17:20], s[6:7] offset:16
	global_store_b128 v48, v[17:20], s[6:7] offset:32
	;; [unrolled: 1-line block ×3, first 2 shown]
	s_and_saveexec_b32 s1, s0
	s_cbranch_execz .LBB10_16
; %bb.9:
	s_clause 0x1
	global_load_b64 v[21:22], v10, s[2:3] offset:32 glc
	global_load_b64 v[11:12], v10, s[2:3] offset:40
	v_mov_b32_e32 v19, s4
	s_mov_b32 s6, exec_lo
	s_waitcnt vmcnt(0)
	v_dual_mov_b32 v20, s5 :: v_dual_and_b32 v9, s5, v12
	v_and_b32_e32 v11, s4, v11
	s_delay_alu instid0(VALU_DEP_2) | instskip(NEXT) | instid1(VALU_DEP_2)
	v_mul_lo_u32 v9, v9, 24
	v_mul_hi_u32 v12, v11, 24
	v_mul_lo_u32 v11, v11, 24
	s_delay_alu instid0(VALU_DEP_2) | instskip(NEXT) | instid1(VALU_DEP_2)
	v_add_nc_u32_e32 v9, v12, v9
	v_add_co_u32 v17, vcc_lo, v13, v11
	s_delay_alu instid0(VALU_DEP_2)
	v_add_co_ci_u32_e32 v18, vcc_lo, v14, v9, vcc_lo
	global_store_b64 v[17:18], v[21:22], off
	s_waitcnt_vscnt null, 0x0
	global_atomic_cmpswap_b64 v[13:14], v10, v[19:22], s[2:3] offset:32 glc
	s_waitcnt vmcnt(0)
	v_cmpx_ne_u64_e64 v[13:14], v[21:22]
	s_cbranch_execz .LBB10_12
; %bb.10:
	s_mov_b32 s7, 0
.LBB10_11:                              ; =>This Inner Loop Header: Depth=1
	v_dual_mov_b32 v11, s4 :: v_dual_mov_b32 v12, s5
	s_sleep 1
	global_store_b64 v[17:18], v[13:14], off
	s_waitcnt_vscnt null, 0x0
	global_atomic_cmpswap_b64 v[11:12], v10, v[11:14], s[2:3] offset:32 glc
	s_waitcnt vmcnt(0)
	v_cmp_eq_u64_e32 vcc_lo, v[11:12], v[13:14]
	v_dual_mov_b32 v14, v12 :: v_dual_mov_b32 v13, v11
	s_or_b32 s7, vcc_lo, s7
	s_delay_alu instid0(SALU_CYCLE_1)
	s_and_not1_b32 exec_lo, exec_lo, s7
	s_cbranch_execnz .LBB10_11
.LBB10_12:
	s_or_b32 exec_lo, exec_lo, s6
	v_mov_b32_e32 v12, 0
	s_mov_b32 s7, exec_lo
	s_mov_b32 s6, exec_lo
	v_mbcnt_lo_u32_b32 v11, s7, 0
	global_load_b64 v[9:10], v12, s[2:3] offset:16
	v_cmpx_eq_u32_e32 0, v11
	s_cbranch_execz .LBB10_14
; %bb.13:
	s_bcnt1_i32_b32 s7, s7
	s_delay_alu instid0(SALU_CYCLE_1)
	v_mov_b32_e32 v11, s7
	s_waitcnt vmcnt(0)
	global_atomic_add_u64 v[9:10], v[11:12], off offset:8
.LBB10_14:
	s_or_b32 exec_lo, exec_lo, s6
	s_waitcnt vmcnt(0)
	global_load_b64 v[11:12], v[9:10], off offset:16
	s_waitcnt vmcnt(0)
	v_cmp_eq_u64_e32 vcc_lo, 0, v[11:12]
	s_cbranch_vccnz .LBB10_16
; %bb.15:
	global_load_b32 v9, v[9:10], off offset:24
	s_waitcnt vmcnt(0)
	v_dual_mov_b32 v10, 0 :: v_dual_and_b32 v13, 0xffffff, v9
	s_waitcnt_vscnt null, 0x0
	global_store_b64 v[11:12], v[9:10], off
	v_readfirstlane_b32 m0, v13
	s_sendmsg sendmsg(MSG_INTERRUPT)
.LBB10_16:
	s_or_b32 exec_lo, exec_lo, s1
	s_branch .LBB10_20
	.p2align	6
.LBB10_17:                              ;   in Loop: Header=BB10_20 Depth=1
	s_or_b32 exec_lo, exec_lo, s1
	s_delay_alu instid0(VALU_DEP_1) | instskip(NEXT) | instid1(VALU_DEP_1)
	v_readfirstlane_b32 s1, v9
	s_cmp_eq_u32 s1, 0
	s_cbranch_scc1 .LBB10_19
; %bb.18:                               ;   in Loop: Header=BB10_20 Depth=1
	s_sleep 1
	s_cbranch_execnz .LBB10_20
	s_branch .LBB10_22
	.p2align	6
.LBB10_19:
	s_branch .LBB10_22
.LBB10_20:                              ; =>This Inner Loop Header: Depth=1
	v_mov_b32_e32 v9, 1
	s_and_saveexec_b32 s1, s0
	s_cbranch_execz .LBB10_17
; %bb.21:                               ;   in Loop: Header=BB10_20 Depth=1
	global_load_b32 v9, v[0:1], off offset:20 glc
	s_waitcnt vmcnt(0)
	buffer_gl1_inv
	buffer_gl0_inv
	v_and_b32_e32 v9, 1, v9
	s_branch .LBB10_17
.LBB10_22:
	global_load_b64 v[13:14], v[15:16], off
	s_and_saveexec_b32 s1, s0
	s_cbranch_execz .LBB10_26
; %bb.23:
	v_mov_b32_e32 v15, 0
	s_clause 0x2
	global_load_b64 v[0:1], v15, s[2:3] offset:40
	global_load_b64 v[16:17], v15, s[2:3] offset:24 glc
	global_load_b64 v[11:12], v15, s[2:3]
	s_waitcnt vmcnt(2)
	v_add_co_u32 v18, vcc_lo, v0, 1
	v_add_co_ci_u32_e32 v19, vcc_lo, 0, v1, vcc_lo
	s_delay_alu instid0(VALU_DEP_2) | instskip(NEXT) | instid1(VALU_DEP_2)
	v_add_co_u32 v9, vcc_lo, v18, s4
	v_add_co_ci_u32_e32 v10, vcc_lo, s5, v19, vcc_lo
	s_delay_alu instid0(VALU_DEP_1) | instskip(SKIP_1) | instid1(VALU_DEP_1)
	v_cmp_eq_u64_e32 vcc_lo, 0, v[9:10]
	v_dual_cndmask_b32 v10, v10, v19 :: v_dual_cndmask_b32 v9, v9, v18
	v_and_b32_e32 v1, v10, v1
	s_delay_alu instid0(VALU_DEP_2) | instskip(NEXT) | instid1(VALU_DEP_2)
	v_and_b32_e32 v0, v9, v0
	v_mul_lo_u32 v1, v1, 24
	s_delay_alu instid0(VALU_DEP_2) | instskip(SKIP_1) | instid1(VALU_DEP_2)
	v_mul_hi_u32 v18, v0, 24
	v_mul_lo_u32 v0, v0, 24
	v_add_nc_u32_e32 v1, v18, v1
	s_waitcnt vmcnt(0)
	s_delay_alu instid0(VALU_DEP_2) | instskip(SKIP_1) | instid1(VALU_DEP_3)
	v_add_co_u32 v0, vcc_lo, v11, v0
	v_mov_b32_e32 v11, v16
	v_add_co_ci_u32_e32 v1, vcc_lo, v12, v1, vcc_lo
	v_mov_b32_e32 v12, v17
	global_store_b64 v[0:1], v[16:17], off
	s_waitcnt_vscnt null, 0x0
	global_atomic_cmpswap_b64 v[11:12], v15, v[9:12], s[2:3] offset:24 glc
	s_waitcnt vmcnt(0)
	v_cmp_ne_u64_e32 vcc_lo, v[11:12], v[16:17]
	s_and_b32 exec_lo, exec_lo, vcc_lo
	s_cbranch_execz .LBB10_26
; %bb.24:
	s_mov_b32 s0, 0
.LBB10_25:                              ; =>This Inner Loop Header: Depth=1
	s_sleep 1
	global_store_b64 v[0:1], v[11:12], off
	s_waitcnt_vscnt null, 0x0
	global_atomic_cmpswap_b64 v[16:17], v15, v[9:12], s[2:3] offset:24 glc
	s_waitcnt vmcnt(0)
	v_cmp_eq_u64_e32 vcc_lo, v[16:17], v[11:12]
	v_dual_mov_b32 v11, v16 :: v_dual_mov_b32 v12, v17
	s_or_b32 s0, vcc_lo, s0
	s_delay_alu instid0(SALU_CYCLE_1)
	s_and_not1_b32 exec_lo, exec_lo, s0
	s_cbranch_execnz .LBB10_25
.LBB10_26:
	s_or_b32 exec_lo, exec_lo, s1
	v_mov_b32_e32 v1, s33
	s_mov_b32 s0, 0
.LBB10_27:                              ; =>This Inner Loop Header: Depth=1
	scratch_load_u8 v9, v1, off
	v_add_nc_u32_e32 v0, 1, v1
	s_delay_alu instid0(VALU_DEP_1) | instskip(SKIP_3) | instid1(SALU_CYCLE_1)
	v_mov_b32_e32 v1, v0
	s_waitcnt vmcnt(0)
	v_cmp_eq_u16_e32 vcc_lo, 0, v9
	s_or_b32 s0, vcc_lo, s0
	s_and_not1_b32 exec_lo, exec_lo, s0
	s_cbranch_execnz .LBB10_27
; %bb.28:
	s_or_b32 exec_lo, exec_lo, s0
	v_cmp_ne_u32_e64 s0, -1, s33
	s_delay_alu instid0(VALU_DEP_1)
	s_and_b32 vcc_lo, exec_lo, s0
	s_cbranch_vccz .LBB10_113
; %bb.29:
	v_subrev_nc_u32_e32 v0, s33, v0
	v_dual_mov_b32 v16, 0 :: v_dual_and_b32 v39, 2, v13
	v_dual_mov_b32 v10, v14 :: v_dual_and_b32 v9, -3, v13
	s_delay_alu instid0(VALU_DEP_3)
	v_ashrrev_i32_e32 v1, 31, v0
	v_dual_mov_b32 v50, s33 :: v_dual_mov_b32 v17, 2
	v_mov_b32_e32 v18, 1
	s_mov_b32 s11, 0
	s_mov_b32 s10, 0
	s_branch .LBB10_31
.LBB10_30:                              ;   in Loop: Header=BB10_31 Depth=1
	s_or_b32 exec_lo, exec_lo, s1
	v_sub_co_u32 v0, vcc_lo, v0, v35
	v_sub_co_ci_u32_e32 v1, vcc_lo, v1, v36, vcc_lo
	v_add_nc_u32_e32 v50, v50, v35
	s_delay_alu instid0(VALU_DEP_2) | instskip(SKIP_1) | instid1(SALU_CYCLE_1)
	v_cmp_eq_u64_e32 vcc_lo, 0, v[0:1]
	s_or_b32 s10, vcc_lo, s10
	s_and_not1_b32 exec_lo, exec_lo, s10
	s_cbranch_execz .LBB10_114
.LBB10_31:                              ; =>This Loop Header: Depth=1
                                        ;     Child Loop BB10_34 Depth 2
                                        ;     Child Loop BB10_42 Depth 2
	;; [unrolled: 1-line block ×11, first 2 shown]
	v_cmp_gt_u64_e32 vcc_lo, 56, v[0:1]
	s_mov_b32 s4, exec_lo
                                        ; implicit-def: $vgpr11_vgpr12
                                        ; implicit-def: $sgpr1
	v_dual_cndmask_b32 v36, 0, v1 :: v_dual_cndmask_b32 v35, 56, v0
	v_cmpx_gt_u64_e32 8, v[0:1]
	s_xor_b32 s4, exec_lo, s4
	s_cbranch_execz .LBB10_37
; %bb.32:                               ;   in Loop: Header=BB10_31 Depth=1
	s_waitcnt vmcnt(0)
	v_mov_b32_e32 v11, 0
	v_mov_b32_e32 v12, 0
	s_mov_b64 s[0:1], 0
	s_mov_b32 s5, exec_lo
	v_cmpx_ne_u64_e32 0, v[0:1]
	s_cbranch_execz .LBB10_36
; %bb.33:                               ;   in Loop: Header=BB10_31 Depth=1
	v_lshlrev_b64 v[19:20], 3, v[35:36]
	v_mov_b32_e32 v11, 0
	v_dual_mov_b32 v12, 0 :: v_dual_mov_b32 v15, v50
	s_mov_b32 s6, 0
.LBB10_34:                              ;   Parent Loop BB10_31 Depth=1
                                        ; =>  This Inner Loop Header: Depth=2
	scratch_load_u8 v20, v15, off
	v_mov_b32_e32 v21, s11
	v_add_nc_u32_e32 v15, 1, v15
	s_waitcnt vmcnt(0)
	v_and_b32_e32 v20, 0xffff, v20
	s_delay_alu instid0(VALU_DEP_1) | instskip(SKIP_3) | instid1(VALU_DEP_2)
	v_lshlrev_b64 v[20:21], s0, v[20:21]
	s_add_u32 s0, s0, 8
	s_addc_u32 s1, s1, 0
	v_cmp_eq_u32_e32 vcc_lo, s0, v19
	v_or_b32_e32 v12, v21, v12
	s_delay_alu instid0(VALU_DEP_3) | instskip(SKIP_1) | instid1(SALU_CYCLE_1)
	v_or_b32_e32 v11, v20, v11
	s_or_b32 s6, vcc_lo, s6
	s_and_not1_b32 exec_lo, exec_lo, s6
	s_cbranch_execnz .LBB10_34
; %bb.35:                               ;   in Loop: Header=BB10_31 Depth=1
	s_or_b32 exec_lo, exec_lo, s6
.LBB10_36:                              ;   in Loop: Header=BB10_31 Depth=1
	s_delay_alu instid0(SALU_CYCLE_1)
	s_or_b32 exec_lo, exec_lo, s5
	s_mov_b32 s1, 0
.LBB10_37:                              ;   in Loop: Header=BB10_31 Depth=1
	s_or_saveexec_b32 s0, s4
	v_mov_b32_e32 v21, s1
	v_mov_b32_e32 v15, v50
	s_xor_b32 exec_lo, exec_lo, s0
	s_cbranch_execz .LBB10_39
; %bb.38:                               ;   in Loop: Header=BB10_31 Depth=1
	scratch_load_b64 v[11:12], v50, off
	v_add_nc_u32_e32 v21, -8, v35
	s_waitcnt vmcnt(0)
	v_and_b32_e32 v15, 0xff, v12
	v_and_b32_e32 v19, 0xff00, v12
	;; [unrolled: 1-line block ×4, first 2 shown]
	v_or3_b32 v11, v11, 0, 0
	s_delay_alu instid0(VALU_DEP_4) | instskip(NEXT) | instid1(VALU_DEP_1)
	v_or_b32_e32 v15, v15, v19
	v_or3_b32 v12, v15, v20, v12
	v_add_nc_u32_e32 v15, 8, v50
.LBB10_39:                              ;   in Loop: Header=BB10_31 Depth=1
	s_or_b32 exec_lo, exec_lo, s0
                                        ; implicit-def: $vgpr19_vgpr20
                                        ; implicit-def: $sgpr1
	s_delay_alu instid0(SALU_CYCLE_1)
	s_mov_b32 s0, exec_lo
	v_cmpx_gt_u32_e32 8, v21
	s_xor_b32 s4, exec_lo, s0
	s_cbranch_execz .LBB10_45
; %bb.40:                               ;   in Loop: Header=BB10_31 Depth=1
	v_mov_b32_e32 v19, 0
	v_mov_b32_e32 v20, 0
	s_mov_b32 s5, exec_lo
	v_cmpx_ne_u32_e32 0, v21
	s_cbranch_execz .LBB10_44
; %bb.41:                               ;   in Loop: Header=BB10_31 Depth=1
	v_mov_b32_e32 v19, 0
	v_mov_b32_e32 v20, 0
	s_mov_b64 s[0:1], 0
	s_mov_b32 s6, 0
	s_mov_b32 s7, 0
	.p2align	6
.LBB10_42:                              ;   Parent Loop BB10_31 Depth=1
                                        ; =>  This Inner Loop Header: Depth=2
	s_delay_alu instid0(SALU_CYCLE_1) | instskip(SKIP_1) | instid1(SALU_CYCLE_1)
	v_dual_mov_b32 v23, s11 :: v_dual_add_nc_u32 v22, s7, v15
	s_add_i32 s7, s7, 1
	v_cmp_eq_u32_e32 vcc_lo, s7, v21
	scratch_load_u8 v22, v22, off
	s_waitcnt vmcnt(0)
	v_and_b32_e32 v22, 0xffff, v22
	s_delay_alu instid0(VALU_DEP_1) | instskip(SKIP_3) | instid1(VALU_DEP_1)
	v_lshlrev_b64 v[22:23], s0, v[22:23]
	s_add_u32 s0, s0, 8
	s_addc_u32 s1, s1, 0
	s_or_b32 s6, vcc_lo, s6
	v_or_b32_e32 v20, v23, v20
	s_delay_alu instid0(VALU_DEP_2)
	v_or_b32_e32 v19, v22, v19
	s_and_not1_b32 exec_lo, exec_lo, s6
	s_cbranch_execnz .LBB10_42
; %bb.43:                               ;   in Loop: Header=BB10_31 Depth=1
	s_or_b32 exec_lo, exec_lo, s6
.LBB10_44:                              ;   in Loop: Header=BB10_31 Depth=1
	s_delay_alu instid0(SALU_CYCLE_1)
	s_or_b32 exec_lo, exec_lo, s5
	s_mov_b32 s1, 0
                                        ; implicit-def: $vgpr21
.LBB10_45:                              ;   in Loop: Header=BB10_31 Depth=1
	s_or_saveexec_b32 s0, s4
	v_mov_b32_e32 v23, s1
	s_xor_b32 exec_lo, exec_lo, s0
	s_cbranch_execz .LBB10_47
; %bb.46:                               ;   in Loop: Header=BB10_31 Depth=1
	scratch_load_b64 v[19:20], v15, off
	v_add_nc_u32_e32 v15, 8, v15
	s_waitcnt vmcnt(0)
	v_and_b32_e32 v22, 0xff, v20
	v_and_b32_e32 v23, 0xff00, v20
	;; [unrolled: 1-line block ×4, first 2 shown]
	v_or3_b32 v19, v19, 0, 0
	s_delay_alu instid0(VALU_DEP_4) | instskip(SKIP_1) | instid1(VALU_DEP_2)
	v_or_b32_e32 v22, v22, v23
	v_add_nc_u32_e32 v23, -8, v21
	v_or3_b32 v20, v22, v24, v20
.LBB10_47:                              ;   in Loop: Header=BB10_31 Depth=1
	s_or_b32 exec_lo, exec_lo, s0
                                        ; implicit-def: $sgpr1
	s_delay_alu instid0(SALU_CYCLE_1) | instskip(NEXT) | instid1(VALU_DEP_1)
	s_mov_b32 s0, exec_lo
	v_cmpx_gt_u32_e32 8, v23
	s_xor_b32 s4, exec_lo, s0
	s_cbranch_execz .LBB10_53
; %bb.48:                               ;   in Loop: Header=BB10_31 Depth=1
	v_mov_b32_e32 v21, 0
	v_mov_b32_e32 v22, 0
	s_mov_b32 s5, exec_lo
	v_cmpx_ne_u32_e32 0, v23
	s_cbranch_execz .LBB10_52
; %bb.49:                               ;   in Loop: Header=BB10_31 Depth=1
	v_mov_b32_e32 v21, 0
	v_mov_b32_e32 v22, 0
	s_mov_b64 s[0:1], 0
	s_mov_b32 s6, 0
	s_mov_b32 s7, 0
	.p2align	6
.LBB10_50:                              ;   Parent Loop BB10_31 Depth=1
                                        ; =>  This Inner Loop Header: Depth=2
	s_delay_alu instid0(SALU_CYCLE_1) | instskip(SKIP_1) | instid1(SALU_CYCLE_1)
	v_dual_mov_b32 v25, s11 :: v_dual_add_nc_u32 v24, s7, v15
	s_add_i32 s7, s7, 1
	v_cmp_eq_u32_e32 vcc_lo, s7, v23
	scratch_load_u8 v24, v24, off
	s_waitcnt vmcnt(0)
	v_and_b32_e32 v24, 0xffff, v24
	s_delay_alu instid0(VALU_DEP_1) | instskip(SKIP_3) | instid1(VALU_DEP_1)
	v_lshlrev_b64 v[24:25], s0, v[24:25]
	s_add_u32 s0, s0, 8
	s_addc_u32 s1, s1, 0
	s_or_b32 s6, vcc_lo, s6
	v_or_b32_e32 v22, v25, v22
	s_delay_alu instid0(VALU_DEP_2)
	v_or_b32_e32 v21, v24, v21
	s_and_not1_b32 exec_lo, exec_lo, s6
	s_cbranch_execnz .LBB10_50
; %bb.51:                               ;   in Loop: Header=BB10_31 Depth=1
	s_or_b32 exec_lo, exec_lo, s6
.LBB10_52:                              ;   in Loop: Header=BB10_31 Depth=1
	s_delay_alu instid0(SALU_CYCLE_1)
	s_or_b32 exec_lo, exec_lo, s5
	s_mov_b32 s1, 0
                                        ; implicit-def: $vgpr23
.LBB10_53:                              ;   in Loop: Header=BB10_31 Depth=1
	s_or_saveexec_b32 s0, s4
	v_mov_b32_e32 v25, s1
	s_xor_b32 exec_lo, exec_lo, s0
	s_cbranch_execz .LBB10_55
; %bb.54:                               ;   in Loop: Header=BB10_31 Depth=1
	scratch_load_b64 v[21:22], v15, off
	v_add_nc_u32_e32 v15, 8, v15
	s_waitcnt vmcnt(0)
	v_and_b32_e32 v24, 0xff, v22
	v_and_b32_e32 v25, 0xff00, v22
	;; [unrolled: 1-line block ×4, first 2 shown]
	v_or3_b32 v21, v21, 0, 0
	s_delay_alu instid0(VALU_DEP_4) | instskip(SKIP_1) | instid1(VALU_DEP_2)
	v_or_b32_e32 v24, v24, v25
	v_add_nc_u32_e32 v25, -8, v23
	v_or3_b32 v22, v24, v26, v22
.LBB10_55:                              ;   in Loop: Header=BB10_31 Depth=1
	s_or_b32 exec_lo, exec_lo, s0
                                        ; implicit-def: $vgpr23_vgpr24
                                        ; implicit-def: $sgpr1
	s_delay_alu instid0(SALU_CYCLE_1) | instskip(NEXT) | instid1(VALU_DEP_1)
	s_mov_b32 s0, exec_lo
	v_cmpx_gt_u32_e32 8, v25
	s_xor_b32 s4, exec_lo, s0
	s_cbranch_execz .LBB10_61
; %bb.56:                               ;   in Loop: Header=BB10_31 Depth=1
	v_mov_b32_e32 v23, 0
	v_mov_b32_e32 v24, 0
	s_mov_b32 s5, exec_lo
	v_cmpx_ne_u32_e32 0, v25
	s_cbranch_execz .LBB10_60
; %bb.57:                               ;   in Loop: Header=BB10_31 Depth=1
	v_mov_b32_e32 v23, 0
	v_mov_b32_e32 v24, 0
	s_mov_b64 s[0:1], 0
	s_mov_b32 s6, 0
	s_mov_b32 s7, 0
	.p2align	6
.LBB10_58:                              ;   Parent Loop BB10_31 Depth=1
                                        ; =>  This Inner Loop Header: Depth=2
	s_delay_alu instid0(SALU_CYCLE_1) | instskip(SKIP_1) | instid1(SALU_CYCLE_1)
	v_dual_mov_b32 v27, s11 :: v_dual_add_nc_u32 v26, s7, v15
	s_add_i32 s7, s7, 1
	v_cmp_eq_u32_e32 vcc_lo, s7, v25
	scratch_load_u8 v26, v26, off
	s_waitcnt vmcnt(0)
	v_and_b32_e32 v26, 0xffff, v26
	s_delay_alu instid0(VALU_DEP_1) | instskip(SKIP_3) | instid1(VALU_DEP_1)
	v_lshlrev_b64 v[26:27], s0, v[26:27]
	s_add_u32 s0, s0, 8
	s_addc_u32 s1, s1, 0
	s_or_b32 s6, vcc_lo, s6
	v_or_b32_e32 v24, v27, v24
	s_delay_alu instid0(VALU_DEP_2)
	v_or_b32_e32 v23, v26, v23
	s_and_not1_b32 exec_lo, exec_lo, s6
	s_cbranch_execnz .LBB10_58
; %bb.59:                               ;   in Loop: Header=BB10_31 Depth=1
	s_or_b32 exec_lo, exec_lo, s6
.LBB10_60:                              ;   in Loop: Header=BB10_31 Depth=1
	s_delay_alu instid0(SALU_CYCLE_1)
	s_or_b32 exec_lo, exec_lo, s5
	s_mov_b32 s1, 0
                                        ; implicit-def: $vgpr25
.LBB10_61:                              ;   in Loop: Header=BB10_31 Depth=1
	s_or_saveexec_b32 s0, s4
	v_mov_b32_e32 v27, s1
	s_xor_b32 exec_lo, exec_lo, s0
	s_cbranch_execz .LBB10_63
; %bb.62:                               ;   in Loop: Header=BB10_31 Depth=1
	scratch_load_b64 v[23:24], v15, off
	v_add_nc_u32_e32 v15, 8, v15
	s_waitcnt vmcnt(0)
	v_and_b32_e32 v26, 0xff, v24
	v_and_b32_e32 v27, 0xff00, v24
	;; [unrolled: 1-line block ×4, first 2 shown]
	v_or3_b32 v23, v23, 0, 0
	s_delay_alu instid0(VALU_DEP_4) | instskip(SKIP_1) | instid1(VALU_DEP_2)
	v_or_b32_e32 v26, v26, v27
	v_add_nc_u32_e32 v27, -8, v25
	v_or3_b32 v24, v26, v28, v24
.LBB10_63:                              ;   in Loop: Header=BB10_31 Depth=1
	s_or_b32 exec_lo, exec_lo, s0
                                        ; implicit-def: $sgpr1
	s_delay_alu instid0(SALU_CYCLE_1) | instskip(NEXT) | instid1(VALU_DEP_1)
	s_mov_b32 s0, exec_lo
	v_cmpx_gt_u32_e32 8, v27
	s_xor_b32 s4, exec_lo, s0
	s_cbranch_execz .LBB10_69
; %bb.64:                               ;   in Loop: Header=BB10_31 Depth=1
	v_mov_b32_e32 v25, 0
	v_mov_b32_e32 v26, 0
	s_mov_b32 s5, exec_lo
	v_cmpx_ne_u32_e32 0, v27
	s_cbranch_execz .LBB10_68
; %bb.65:                               ;   in Loop: Header=BB10_31 Depth=1
	v_mov_b32_e32 v25, 0
	v_mov_b32_e32 v26, 0
	s_mov_b64 s[0:1], 0
	s_mov_b32 s6, 0
	s_mov_b32 s7, 0
	.p2align	6
.LBB10_66:                              ;   Parent Loop BB10_31 Depth=1
                                        ; =>  This Inner Loop Header: Depth=2
	s_delay_alu instid0(SALU_CYCLE_1) | instskip(SKIP_1) | instid1(SALU_CYCLE_1)
	v_dual_mov_b32 v29, s11 :: v_dual_add_nc_u32 v28, s7, v15
	s_add_i32 s7, s7, 1
	v_cmp_eq_u32_e32 vcc_lo, s7, v27
	scratch_load_u8 v28, v28, off
	s_waitcnt vmcnt(0)
	v_and_b32_e32 v28, 0xffff, v28
	s_delay_alu instid0(VALU_DEP_1) | instskip(SKIP_3) | instid1(VALU_DEP_1)
	v_lshlrev_b64 v[28:29], s0, v[28:29]
	s_add_u32 s0, s0, 8
	s_addc_u32 s1, s1, 0
	s_or_b32 s6, vcc_lo, s6
	v_or_b32_e32 v26, v29, v26
	s_delay_alu instid0(VALU_DEP_2)
	v_or_b32_e32 v25, v28, v25
	s_and_not1_b32 exec_lo, exec_lo, s6
	s_cbranch_execnz .LBB10_66
; %bb.67:                               ;   in Loop: Header=BB10_31 Depth=1
	s_or_b32 exec_lo, exec_lo, s6
.LBB10_68:                              ;   in Loop: Header=BB10_31 Depth=1
	s_delay_alu instid0(SALU_CYCLE_1)
	s_or_b32 exec_lo, exec_lo, s5
	s_mov_b32 s1, 0
                                        ; implicit-def: $vgpr27
.LBB10_69:                              ;   in Loop: Header=BB10_31 Depth=1
	s_or_saveexec_b32 s0, s4
	v_mov_b32_e32 v29, s1
	s_xor_b32 exec_lo, exec_lo, s0
	s_cbranch_execz .LBB10_71
; %bb.70:                               ;   in Loop: Header=BB10_31 Depth=1
	scratch_load_b64 v[25:26], v15, off
	v_add_nc_u32_e32 v15, 8, v15
	s_waitcnt vmcnt(0)
	v_and_b32_e32 v28, 0xff, v26
	v_and_b32_e32 v29, 0xff00, v26
	;; [unrolled: 1-line block ×4, first 2 shown]
	v_or3_b32 v25, v25, 0, 0
	s_delay_alu instid0(VALU_DEP_4) | instskip(SKIP_1) | instid1(VALU_DEP_2)
	v_or_b32_e32 v28, v28, v29
	v_add_nc_u32_e32 v29, -8, v27
	v_or3_b32 v26, v28, v30, v26
.LBB10_71:                              ;   in Loop: Header=BB10_31 Depth=1
	s_or_b32 exec_lo, exec_lo, s0
                                        ; implicit-def: $vgpr27_vgpr28
                                        ; implicit-def: $sgpr1
	s_delay_alu instid0(SALU_CYCLE_1) | instskip(NEXT) | instid1(VALU_DEP_1)
	s_mov_b32 s0, exec_lo
	v_cmpx_gt_u32_e32 8, v29
	s_xor_b32 s4, exec_lo, s0
	s_cbranch_execz .LBB10_77
; %bb.72:                               ;   in Loop: Header=BB10_31 Depth=1
	v_mov_b32_e32 v27, 0
	v_mov_b32_e32 v28, 0
	s_mov_b32 s5, exec_lo
	v_cmpx_ne_u32_e32 0, v29
	s_cbranch_execz .LBB10_76
; %bb.73:                               ;   in Loop: Header=BB10_31 Depth=1
	v_mov_b32_e32 v27, 0
	v_mov_b32_e32 v28, 0
	s_mov_b64 s[0:1], 0
	s_mov_b32 s6, 0
	s_mov_b32 s7, 0
	.p2align	6
.LBB10_74:                              ;   Parent Loop BB10_31 Depth=1
                                        ; =>  This Inner Loop Header: Depth=2
	s_delay_alu instid0(SALU_CYCLE_1) | instskip(SKIP_1) | instid1(SALU_CYCLE_1)
	v_dual_mov_b32 v31, s11 :: v_dual_add_nc_u32 v30, s7, v15
	s_add_i32 s7, s7, 1
	v_cmp_eq_u32_e32 vcc_lo, s7, v29
	scratch_load_u8 v30, v30, off
	s_waitcnt vmcnt(0)
	v_and_b32_e32 v30, 0xffff, v30
	s_delay_alu instid0(VALU_DEP_1) | instskip(SKIP_3) | instid1(VALU_DEP_1)
	v_lshlrev_b64 v[30:31], s0, v[30:31]
	s_add_u32 s0, s0, 8
	s_addc_u32 s1, s1, 0
	s_or_b32 s6, vcc_lo, s6
	v_or_b32_e32 v28, v31, v28
	s_delay_alu instid0(VALU_DEP_2)
	v_or_b32_e32 v27, v30, v27
	s_and_not1_b32 exec_lo, exec_lo, s6
	s_cbranch_execnz .LBB10_74
; %bb.75:                               ;   in Loop: Header=BB10_31 Depth=1
	s_or_b32 exec_lo, exec_lo, s6
.LBB10_76:                              ;   in Loop: Header=BB10_31 Depth=1
	s_delay_alu instid0(SALU_CYCLE_1)
	s_or_b32 exec_lo, exec_lo, s5
	s_mov_b32 s1, 0
                                        ; implicit-def: $vgpr29
.LBB10_77:                              ;   in Loop: Header=BB10_31 Depth=1
	s_or_saveexec_b32 s0, s4
	v_mov_b32_e32 v31, s1
	s_xor_b32 exec_lo, exec_lo, s0
	s_cbranch_execz .LBB10_79
; %bb.78:                               ;   in Loop: Header=BB10_31 Depth=1
	scratch_load_b64 v[27:28], v15, off
	v_add_nc_u32_e32 v15, 8, v15
	s_waitcnt vmcnt(0)
	v_and_b32_e32 v30, 0xff, v28
	v_and_b32_e32 v31, 0xff00, v28
	;; [unrolled: 1-line block ×4, first 2 shown]
	v_or3_b32 v27, v27, 0, 0
	s_delay_alu instid0(VALU_DEP_4) | instskip(SKIP_1) | instid1(VALU_DEP_2)
	v_or_b32_e32 v30, v30, v31
	v_add_nc_u32_e32 v31, -8, v29
	v_or3_b32 v28, v30, v32, v28
.LBB10_79:                              ;   in Loop: Header=BB10_31 Depth=1
	s_or_b32 exec_lo, exec_lo, s0
	s_delay_alu instid0(SALU_CYCLE_1) | instskip(NEXT) | instid1(VALU_DEP_1)
	s_mov_b32 s0, exec_lo
	v_cmpx_gt_u32_e32 8, v31
	s_xor_b32 s4, exec_lo, s0
	s_cbranch_execz .LBB10_85
; %bb.80:                               ;   in Loop: Header=BB10_31 Depth=1
	v_mov_b32_e32 v29, 0
	v_mov_b32_e32 v30, 0
	s_mov_b32 s5, exec_lo
	v_cmpx_ne_u32_e32 0, v31
	s_cbranch_execz .LBB10_84
; %bb.81:                               ;   in Loop: Header=BB10_31 Depth=1
	v_mov_b32_e32 v29, 0
	v_mov_b32_e32 v30, 0
	s_mov_b64 s[0:1], 0
	s_mov_b32 s6, 0
	.p2align	6
.LBB10_82:                              ;   Parent Loop BB10_31 Depth=1
                                        ; =>  This Inner Loop Header: Depth=2
	scratch_load_u8 v32, v15, off
	v_mov_b32_e32 v33, s11
	v_add_nc_u32_e32 v31, -1, v31
	v_add_nc_u32_e32 v15, 1, v15
	s_delay_alu instid0(VALU_DEP_2) | instskip(SKIP_2) | instid1(VALU_DEP_1)
	v_cmp_eq_u32_e32 vcc_lo, 0, v31
	s_waitcnt vmcnt(0)
	v_and_b32_e32 v32, 0xffff, v32
	v_lshlrev_b64 v[32:33], s0, v[32:33]
	s_add_u32 s0, s0, 8
	s_addc_u32 s1, s1, 0
	s_or_b32 s6, vcc_lo, s6
	s_delay_alu instid0(VALU_DEP_1) | instskip(NEXT) | instid1(VALU_DEP_2)
	v_or_b32_e32 v30, v33, v30
	v_or_b32_e32 v29, v32, v29
	s_and_not1_b32 exec_lo, exec_lo, s6
	s_cbranch_execnz .LBB10_82
; %bb.83:                               ;   in Loop: Header=BB10_31 Depth=1
	s_or_b32 exec_lo, exec_lo, s6
.LBB10_84:                              ;   in Loop: Header=BB10_31 Depth=1
	s_delay_alu instid0(SALU_CYCLE_1)
	s_or_b32 exec_lo, exec_lo, s5
                                        ; implicit-def: $vgpr15
.LBB10_85:                              ;   in Loop: Header=BB10_31 Depth=1
	s_and_not1_saveexec_b32 s0, s4
	s_cbranch_execz .LBB10_87
; %bb.86:                               ;   in Loop: Header=BB10_31 Depth=1
	scratch_load_b64 v[29:30], v15, off
	s_waitcnt vmcnt(0)
	v_and_b32_e32 v15, 0xff, v30
	v_and_b32_e32 v31, 0xff00, v30
	;; [unrolled: 1-line block ×4, first 2 shown]
	v_or3_b32 v29, v29, 0, 0
	s_delay_alu instid0(VALU_DEP_4) | instskip(NEXT) | instid1(VALU_DEP_1)
	v_or_b32_e32 v15, v15, v31
	v_or3_b32 v30, v15, v32, v30
.LBB10_87:                              ;   in Loop: Header=BB10_31 Depth=1
	s_or_b32 exec_lo, exec_lo, s0
	v_readfirstlane_b32 s0, v49
	v_mov_b32_e32 v37, 0
	v_mov_b32_e32 v38, 0
	s_delay_alu instid0(VALU_DEP_3) | instskip(NEXT) | instid1(VALU_DEP_1)
	v_cmp_eq_u32_e64 s0, s0, v49
	s_and_saveexec_b32 s1, s0
	s_cbranch_execz .LBB10_93
; %bb.88:                               ;   in Loop: Header=BB10_31 Depth=1
	global_load_b64 v[33:34], v16, s[2:3] offset:24 glc
	s_waitcnt vmcnt(0)
	buffer_gl1_inv
	buffer_gl0_inv
	s_clause 0x1
	global_load_b64 v[31:32], v16, s[2:3] offset:40
	global_load_b64 v[37:38], v16, s[2:3]
	s_mov_b32 s4, exec_lo
	s_waitcnt vmcnt(1)
	v_and_b32_e32 v15, v32, v34
	v_and_b32_e32 v31, v31, v33
	s_delay_alu instid0(VALU_DEP_2) | instskip(NEXT) | instid1(VALU_DEP_2)
	v_mul_lo_u32 v15, v15, 24
	v_mul_hi_u32 v32, v31, 24
	v_mul_lo_u32 v31, v31, 24
	s_delay_alu instid0(VALU_DEP_2) | instskip(SKIP_1) | instid1(VALU_DEP_2)
	v_add_nc_u32_e32 v15, v32, v15
	s_waitcnt vmcnt(0)
	v_add_co_u32 v31, vcc_lo, v37, v31
	s_delay_alu instid0(VALU_DEP_2)
	v_add_co_ci_u32_e32 v32, vcc_lo, v38, v15, vcc_lo
	global_load_b64 v[31:32], v[31:32], off glc
	s_waitcnt vmcnt(0)
	global_atomic_cmpswap_b64 v[37:38], v16, v[31:34], s[2:3] offset:24 glc
	s_waitcnt vmcnt(0)
	buffer_gl1_inv
	buffer_gl0_inv
	v_cmpx_ne_u64_e64 v[37:38], v[33:34]
	s_cbranch_execz .LBB10_92
; %bb.89:                               ;   in Loop: Header=BB10_31 Depth=1
	s_mov_b32 s5, 0
	.p2align	6
.LBB10_90:                              ;   Parent Loop BB10_31 Depth=1
                                        ; =>  This Inner Loop Header: Depth=2
	s_sleep 1
	s_clause 0x1
	global_load_b64 v[31:32], v16, s[2:3] offset:40
	global_load_b64 v[51:52], v16, s[2:3]
	v_dual_mov_b32 v33, v37 :: v_dual_mov_b32 v34, v38
	s_waitcnt vmcnt(1)
	s_delay_alu instid0(VALU_DEP_1) | instskip(SKIP_1) | instid1(VALU_DEP_1)
	v_and_b32_e32 v15, v31, v33
	s_waitcnt vmcnt(0)
	v_mad_u64_u32 v[37:38], null, v15, 24, v[51:52]
	v_and_b32_e32 v51, v32, v34
	s_delay_alu instid0(VALU_DEP_2) | instskip(NEXT) | instid1(VALU_DEP_1)
	v_mov_b32_e32 v15, v38
	v_mad_u64_u32 v[31:32], null, v51, 24, v[15:16]
	s_delay_alu instid0(VALU_DEP_1)
	v_mov_b32_e32 v38, v31
	global_load_b64 v[31:32], v[37:38], off glc
	s_waitcnt vmcnt(0)
	global_atomic_cmpswap_b64 v[37:38], v16, v[31:34], s[2:3] offset:24 glc
	s_waitcnt vmcnt(0)
	buffer_gl1_inv
	buffer_gl0_inv
	v_cmp_eq_u64_e32 vcc_lo, v[37:38], v[33:34]
	s_or_b32 s5, vcc_lo, s5
	s_delay_alu instid0(SALU_CYCLE_1)
	s_and_not1_b32 exec_lo, exec_lo, s5
	s_cbranch_execnz .LBB10_90
; %bb.91:                               ;   in Loop: Header=BB10_31 Depth=1
	s_or_b32 exec_lo, exec_lo, s5
.LBB10_92:                              ;   in Loop: Header=BB10_31 Depth=1
	s_delay_alu instid0(SALU_CYCLE_1)
	s_or_b32 exec_lo, exec_lo, s4
.LBB10_93:                              ;   in Loop: Header=BB10_31 Depth=1
	s_delay_alu instid0(SALU_CYCLE_1)
	s_or_b32 exec_lo, exec_lo, s1
	s_clause 0x1
	global_load_b64 v[51:52], v16, s[2:3] offset:40
	global_load_b128 v[31:34], v16, s[2:3]
	v_readfirstlane_b32 s4, v37
	v_readfirstlane_b32 s5, v38
	s_mov_b32 s1, exec_lo
	s_waitcnt vmcnt(1)
	v_readfirstlane_b32 s6, v51
	v_readfirstlane_b32 s7, v52
	s_delay_alu instid0(VALU_DEP_1) | instskip(NEXT) | instid1(SALU_CYCLE_1)
	s_and_b64 s[6:7], s[4:5], s[6:7]
	s_mul_i32 s12, s7, 24
	s_mul_hi_u32 s13, s6, 24
	s_mul_i32 s14, s6, 24
	s_add_i32 s13, s13, s12
	s_waitcnt vmcnt(0)
	v_add_co_u32 v37, vcc_lo, v31, s14
	v_add_co_ci_u32_e32 v38, vcc_lo, s13, v32, vcc_lo
	s_and_saveexec_b32 s12, s0
	s_cbranch_execz .LBB10_95
; %bb.94:                               ;   in Loop: Header=BB10_31 Depth=1
	v_mov_b32_e32 v15, s1
	global_store_b128 v[37:38], v[15:18], off offset:8
.LBB10_95:                              ;   in Loop: Header=BB10_31 Depth=1
	s_or_b32 exec_lo, exec_lo, s12
	v_cmp_lt_u64_e32 vcc_lo, 56, v[0:1]
	v_or_b32_e32 v15, 0, v10
	v_or_b32_e32 v51, v9, v39
	v_lshl_add_u32 v52, v35, 2, 28
	s_lshl_b64 s[6:7], s[6:7], 12
	s_delay_alu instid0(SALU_CYCLE_1) | instskip(NEXT) | instid1(VALU_DEP_1)
	v_add_co_u32 v33, s1, v33, s6
	v_add_co_ci_u32_e64 v34, s1, s7, v34, s1
	s_delay_alu instid0(VALU_DEP_3) | instskip(SKIP_1) | instid1(VALU_DEP_4)
	v_dual_cndmask_b32 v10, v15, v10 :: v_dual_and_b32 v15, 0x1e0, v52
	v_cndmask_b32_e32 v9, v51, v9, vcc_lo
	v_readfirstlane_b32 s6, v33
	s_delay_alu instid0(VALU_DEP_4) | instskip(NEXT) | instid1(VALU_DEP_3)
	v_readfirstlane_b32 s7, v34
	v_and_or_b32 v9, 0xffffff1f, v9, v15
	s_clause 0x3
	global_store_b128 v48, v[9:12], s[6:7]
	global_store_b128 v48, v[19:22], s[6:7] offset:16
	global_store_b128 v48, v[23:26], s[6:7] offset:32
	;; [unrolled: 1-line block ×3, first 2 shown]
	s_and_saveexec_b32 s1, s0
	s_cbranch_execz .LBB10_103
; %bb.96:                               ;   in Loop: Header=BB10_31 Depth=1
	s_clause 0x1
	global_load_b64 v[23:24], v16, s[2:3] offset:32 glc
	global_load_b64 v[9:10], v16, s[2:3] offset:40
	v_dual_mov_b32 v21, s4 :: v_dual_mov_b32 v22, s5
	s_waitcnt vmcnt(0)
	v_readfirstlane_b32 s6, v9
	v_readfirstlane_b32 s7, v10
	s_delay_alu instid0(VALU_DEP_1) | instskip(NEXT) | instid1(SALU_CYCLE_1)
	s_and_b64 s[6:7], s[6:7], s[4:5]
	s_mul_i32 s7, s7, 24
	s_mul_hi_u32 s12, s6, 24
	s_mul_i32 s6, s6, 24
	s_add_i32 s12, s12, s7
	v_add_co_u32 v19, vcc_lo, v31, s6
	v_add_co_ci_u32_e32 v20, vcc_lo, s12, v32, vcc_lo
	s_mov_b32 s6, exec_lo
	global_store_b64 v[19:20], v[23:24], off
	s_waitcnt_vscnt null, 0x0
	global_atomic_cmpswap_b64 v[11:12], v16, v[21:24], s[2:3] offset:32 glc
	s_waitcnt vmcnt(0)
	v_cmpx_ne_u64_e64 v[11:12], v[23:24]
	s_cbranch_execz .LBB10_99
; %bb.97:                               ;   in Loop: Header=BB10_31 Depth=1
	s_mov_b32 s7, 0
.LBB10_98:                              ;   Parent Loop BB10_31 Depth=1
                                        ; =>  This Inner Loop Header: Depth=2
	v_dual_mov_b32 v9, s4 :: v_dual_mov_b32 v10, s5
	s_sleep 1
	global_store_b64 v[19:20], v[11:12], off
	s_waitcnt_vscnt null, 0x0
	global_atomic_cmpswap_b64 v[9:10], v16, v[9:12], s[2:3] offset:32 glc
	s_waitcnt vmcnt(0)
	v_cmp_eq_u64_e32 vcc_lo, v[9:10], v[11:12]
	v_dual_mov_b32 v12, v10 :: v_dual_mov_b32 v11, v9
	s_or_b32 s7, vcc_lo, s7
	s_delay_alu instid0(SALU_CYCLE_1)
	s_and_not1_b32 exec_lo, exec_lo, s7
	s_cbranch_execnz .LBB10_98
.LBB10_99:                              ;   in Loop: Header=BB10_31 Depth=1
	s_or_b32 exec_lo, exec_lo, s6
	global_load_b64 v[9:10], v16, s[2:3] offset:16
	s_mov_b32 s7, exec_lo
	s_mov_b32 s6, exec_lo
	v_mbcnt_lo_u32_b32 v11, s7, 0
	s_delay_alu instid0(VALU_DEP_1)
	v_cmpx_eq_u32_e32 0, v11
	s_cbranch_execz .LBB10_101
; %bb.100:                              ;   in Loop: Header=BB10_31 Depth=1
	s_bcnt1_i32_b32 s7, s7
	s_delay_alu instid0(SALU_CYCLE_1)
	v_mov_b32_e32 v15, s7
	s_waitcnt vmcnt(0)
	global_atomic_add_u64 v[9:10], v[15:16], off offset:8
.LBB10_101:                             ;   in Loop: Header=BB10_31 Depth=1
	s_or_b32 exec_lo, exec_lo, s6
	s_waitcnt vmcnt(0)
	global_load_b64 v[11:12], v[9:10], off offset:16
	s_waitcnt vmcnt(0)
	v_cmp_eq_u64_e32 vcc_lo, 0, v[11:12]
	s_cbranch_vccnz .LBB10_103
; %bb.102:                              ;   in Loop: Header=BB10_31 Depth=1
	global_load_b32 v15, v[9:10], off offset:24
	s_waitcnt vmcnt(0)
	v_and_b32_e32 v9, 0xffffff, v15
	s_waitcnt_vscnt null, 0x0
	global_store_b64 v[11:12], v[15:16], off
	v_readfirstlane_b32 m0, v9
	s_sendmsg sendmsg(MSG_INTERRUPT)
.LBB10_103:                             ;   in Loop: Header=BB10_31 Depth=1
	s_or_b32 exec_lo, exec_lo, s1
	v_add_co_u32 v9, vcc_lo, v33, v48
	v_add_co_ci_u32_e32 v10, vcc_lo, 0, v34, vcc_lo
	s_branch .LBB10_107
	.p2align	6
.LBB10_104:                             ;   in Loop: Header=BB10_107 Depth=2
	s_or_b32 exec_lo, exec_lo, s1
	s_delay_alu instid0(VALU_DEP_1) | instskip(NEXT) | instid1(VALU_DEP_1)
	v_readfirstlane_b32 s1, v11
	s_cmp_eq_u32 s1, 0
	s_cbranch_scc1 .LBB10_106
; %bb.105:                              ;   in Loop: Header=BB10_107 Depth=2
	s_sleep 1
	s_cbranch_execnz .LBB10_107
	s_branch .LBB10_109
	.p2align	6
.LBB10_106:                             ;   in Loop: Header=BB10_31 Depth=1
	s_branch .LBB10_109
.LBB10_107:                             ;   Parent Loop BB10_31 Depth=1
                                        ; =>  This Inner Loop Header: Depth=2
	v_mov_b32_e32 v11, 1
	s_and_saveexec_b32 s1, s0
	s_cbranch_execz .LBB10_104
; %bb.108:                              ;   in Loop: Header=BB10_107 Depth=2
	global_load_b32 v11, v[37:38], off offset:20 glc
	s_waitcnt vmcnt(0)
	buffer_gl1_inv
	buffer_gl0_inv
	v_and_b32_e32 v11, 1, v11
	s_branch .LBB10_104
.LBB10_109:                             ;   in Loop: Header=BB10_31 Depth=1
	global_load_b128 v[9:12], v[9:10], off
	s_and_saveexec_b32 s1, s0
	s_cbranch_execz .LBB10_30
; %bb.110:                              ;   in Loop: Header=BB10_31 Depth=1
	s_clause 0x2
	global_load_b64 v[11:12], v16, s[2:3] offset:40
	global_load_b64 v[23:24], v16, s[2:3] offset:24 glc
	global_load_b64 v[21:22], v16, s[2:3]
	s_waitcnt vmcnt(2)
	v_add_co_u32 v15, vcc_lo, v11, 1
	v_add_co_ci_u32_e32 v25, vcc_lo, 0, v12, vcc_lo
	s_delay_alu instid0(VALU_DEP_2) | instskip(NEXT) | instid1(VALU_DEP_2)
	v_add_co_u32 v19, vcc_lo, v15, s4
	v_add_co_ci_u32_e32 v20, vcc_lo, s5, v25, vcc_lo
	s_delay_alu instid0(VALU_DEP_1) | instskip(SKIP_1) | instid1(VALU_DEP_1)
	v_cmp_eq_u64_e32 vcc_lo, 0, v[19:20]
	v_dual_cndmask_b32 v20, v20, v25 :: v_dual_cndmask_b32 v19, v19, v15
	v_and_b32_e32 v12, v20, v12
	s_delay_alu instid0(VALU_DEP_2) | instskip(NEXT) | instid1(VALU_DEP_1)
	v_and_b32_e32 v11, v19, v11
	v_mul_hi_u32 v15, v11, 24
	v_mul_lo_u32 v11, v11, 24
	s_waitcnt vmcnt(0)
	s_delay_alu instid0(VALU_DEP_1) | instskip(SKIP_2) | instid1(VALU_DEP_1)
	v_add_co_u32 v11, vcc_lo, v21, v11
	v_mov_b32_e32 v21, v23
	v_mul_lo_u32 v12, v12, 24
	v_add_nc_u32_e32 v12, v15, v12
	s_delay_alu instid0(VALU_DEP_1)
	v_add_co_ci_u32_e32 v12, vcc_lo, v22, v12, vcc_lo
	v_mov_b32_e32 v22, v24
	global_store_b64 v[11:12], v[23:24], off
	s_waitcnt_vscnt null, 0x0
	global_atomic_cmpswap_b64 v[21:22], v16, v[19:22], s[2:3] offset:24 glc
	s_waitcnt vmcnt(0)
	v_cmp_ne_u64_e32 vcc_lo, v[21:22], v[23:24]
	s_and_b32 exec_lo, exec_lo, vcc_lo
	s_cbranch_execz .LBB10_30
; %bb.111:                              ;   in Loop: Header=BB10_31 Depth=1
	s_mov_b32 s0, 0
.LBB10_112:                             ;   Parent Loop BB10_31 Depth=1
                                        ; =>  This Inner Loop Header: Depth=2
	s_sleep 1
	global_store_b64 v[11:12], v[21:22], off
	s_waitcnt_vscnt null, 0x0
	global_atomic_cmpswap_b64 v[23:24], v16, v[19:22], s[2:3] offset:24 glc
	s_waitcnt vmcnt(0)
	v_cmp_eq_u64_e32 vcc_lo, v[23:24], v[21:22]
	v_dual_mov_b32 v21, v23 :: v_dual_mov_b32 v22, v24
	s_or_b32 s0, vcc_lo, s0
	s_delay_alu instid0(SALU_CYCLE_1)
	s_and_not1_b32 exec_lo, exec_lo, s0
	s_cbranch_execnz .LBB10_112
	s_branch .LBB10_30
.LBB10_113:
                                        ; implicit-def: $vgpr9_vgpr10
	s_cbranch_execnz .LBB10_115
	s_branch .LBB10_142
.LBB10_114:
	s_or_b32 exec_lo, exec_lo, s10
	s_branch .LBB10_142
.LBB10_115:
	v_readfirstlane_b32 s0, v49
	v_mov_b32_e32 v0, 0
	v_mov_b32_e32 v1, 0
	s_delay_alu instid0(VALU_DEP_3) | instskip(NEXT) | instid1(VALU_DEP_1)
	v_cmp_eq_u32_e64 s0, s0, v49
	s_and_saveexec_b32 s1, s0
	s_cbranch_execz .LBB10_121
; %bb.116:
	s_waitcnt vmcnt(0)
	v_mov_b32_e32 v9, 0
	s_mov_b32 s4, exec_lo
	global_load_b64 v[17:18], v9, s[2:3] offset:24 glc
	s_waitcnt vmcnt(0)
	buffer_gl1_inv
	buffer_gl0_inv
	s_clause 0x1
	global_load_b64 v[0:1], v9, s[2:3] offset:40
	global_load_b64 v[10:11], v9, s[2:3]
	s_waitcnt vmcnt(1)
	v_and_b32_e32 v0, v0, v17
	v_and_b32_e32 v1, v1, v18
	s_delay_alu instid0(VALU_DEP_2) | instskip(NEXT) | instid1(VALU_DEP_2)
	v_mul_hi_u32 v12, v0, 24
	v_mul_lo_u32 v1, v1, 24
	v_mul_lo_u32 v0, v0, 24
	s_delay_alu instid0(VALU_DEP_2) | instskip(SKIP_1) | instid1(VALU_DEP_2)
	v_add_nc_u32_e32 v1, v12, v1
	s_waitcnt vmcnt(0)
	v_add_co_u32 v0, vcc_lo, v10, v0
	s_delay_alu instid0(VALU_DEP_2)
	v_add_co_ci_u32_e32 v1, vcc_lo, v11, v1, vcc_lo
	global_load_b64 v[15:16], v[0:1], off glc
	s_waitcnt vmcnt(0)
	global_atomic_cmpswap_b64 v[0:1], v9, v[15:18], s[2:3] offset:24 glc
	s_waitcnt vmcnt(0)
	buffer_gl1_inv
	buffer_gl0_inv
	v_cmpx_ne_u64_e64 v[0:1], v[17:18]
	s_cbranch_execz .LBB10_120
; %bb.117:
	s_mov_b32 s5, 0
	.p2align	6
.LBB10_118:                             ; =>This Inner Loop Header: Depth=1
	s_sleep 1
	s_clause 0x1
	global_load_b64 v[10:11], v9, s[2:3] offset:40
	global_load_b64 v[15:16], v9, s[2:3]
	v_dual_mov_b32 v18, v1 :: v_dual_mov_b32 v17, v0
	s_waitcnt vmcnt(1)
	s_delay_alu instid0(VALU_DEP_1) | instskip(NEXT) | instid1(VALU_DEP_2)
	v_and_b32_e32 v10, v10, v17
	v_and_b32_e32 v12, v11, v18
	s_waitcnt vmcnt(0)
	s_delay_alu instid0(VALU_DEP_2) | instskip(NEXT) | instid1(VALU_DEP_1)
	v_mad_u64_u32 v[0:1], null, v10, 24, v[15:16]
	v_mad_u64_u32 v[10:11], null, v12, 24, v[1:2]
	s_delay_alu instid0(VALU_DEP_1)
	v_mov_b32_e32 v1, v10
	global_load_b64 v[15:16], v[0:1], off glc
	s_waitcnt vmcnt(0)
	global_atomic_cmpswap_b64 v[0:1], v9, v[15:18], s[2:3] offset:24 glc
	s_waitcnt vmcnt(0)
	buffer_gl1_inv
	buffer_gl0_inv
	v_cmp_eq_u64_e32 vcc_lo, v[0:1], v[17:18]
	s_or_b32 s5, vcc_lo, s5
	s_delay_alu instid0(SALU_CYCLE_1)
	s_and_not1_b32 exec_lo, exec_lo, s5
	s_cbranch_execnz .LBB10_118
; %bb.119:
	s_or_b32 exec_lo, exec_lo, s5
.LBB10_120:
	s_delay_alu instid0(SALU_CYCLE_1)
	s_or_b32 exec_lo, exec_lo, s4
.LBB10_121:
	s_delay_alu instid0(SALU_CYCLE_1)
	s_or_b32 exec_lo, exec_lo, s1
	v_mov_b32_e32 v15, 0
	v_readfirstlane_b32 s4, v0
	v_readfirstlane_b32 s5, v1
	s_mov_b32 s1, exec_lo
	s_clause 0x1
	global_load_b64 v[16:17], v15, s[2:3] offset:40
	global_load_b128 v[9:12], v15, s[2:3]
	s_waitcnt vmcnt(1)
	v_readfirstlane_b32 s6, v16
	v_readfirstlane_b32 s7, v17
	s_delay_alu instid0(VALU_DEP_1) | instskip(NEXT) | instid1(SALU_CYCLE_1)
	s_and_b64 s[6:7], s[4:5], s[6:7]
	s_mul_i32 s10, s7, 24
	s_mul_hi_u32 s11, s6, 24
	s_mul_i32 s12, s6, 24
	s_add_i32 s11, s11, s10
	s_waitcnt vmcnt(0)
	v_add_co_u32 v0, vcc_lo, v9, s12
	v_add_co_ci_u32_e32 v1, vcc_lo, s11, v10, vcc_lo
	s_and_saveexec_b32 s10, s0
	s_cbranch_execz .LBB10_123
; %bb.122:
	v_dual_mov_b32 v16, s1 :: v_dual_mov_b32 v17, v15
	v_dual_mov_b32 v18, 2 :: v_dual_mov_b32 v19, 1
	global_store_b128 v[0:1], v[16:19], off offset:8
.LBB10_123:
	s_or_b32 exec_lo, exec_lo, s10
	s_lshl_b64 s[6:7], s[6:7], 12
	s_mov_b32 s12, 0
	v_add_co_u32 v11, vcc_lo, v11, s6
	v_add_co_ci_u32_e32 v12, vcc_lo, s7, v12, vcc_lo
	s_mov_b32 s15, s12
	s_delay_alu instid0(VALU_DEP_2)
	v_add_co_u32 v17, vcc_lo, v11, v48
	s_mov_b32 s13, s12
	s_mov_b32 s14, s12
	v_and_or_b32 v13, 0xffffff1f, v13, 32
	v_mov_b32_e32 v16, v15
	v_readfirstlane_b32 s6, v11
	v_readfirstlane_b32 s7, v12
	v_dual_mov_b32 v22, s15 :: v_dual_mov_b32 v19, s12
	v_add_co_ci_u32_e32 v18, vcc_lo, 0, v12, vcc_lo
	v_dual_mov_b32 v21, s14 :: v_dual_mov_b32 v20, s13
	s_clause 0x3
	global_store_b128 v48, v[13:16], s[6:7]
	global_store_b128 v48, v[19:22], s[6:7] offset:16
	global_store_b128 v48, v[19:22], s[6:7] offset:32
	;; [unrolled: 1-line block ×3, first 2 shown]
	s_and_saveexec_b32 s1, s0
	s_cbranch_execz .LBB10_131
; %bb.124:
	v_dual_mov_b32 v15, 0 :: v_dual_mov_b32 v20, s5
	v_mov_b32_e32 v19, s4
	s_clause 0x1
	global_load_b64 v[21:22], v15, s[2:3] offset:32 glc
	global_load_b64 v[11:12], v15, s[2:3] offset:40
	s_waitcnt vmcnt(0)
	v_readfirstlane_b32 s6, v11
	v_readfirstlane_b32 s7, v12
	s_delay_alu instid0(VALU_DEP_1) | instskip(NEXT) | instid1(SALU_CYCLE_1)
	s_and_b64 s[6:7], s[6:7], s[4:5]
	s_mul_i32 s7, s7, 24
	s_mul_hi_u32 s10, s6, 24
	s_mul_i32 s6, s6, 24
	s_add_i32 s10, s10, s7
	v_add_co_u32 v13, vcc_lo, v9, s6
	v_add_co_ci_u32_e32 v14, vcc_lo, s10, v10, vcc_lo
	s_mov_b32 s6, exec_lo
	global_store_b64 v[13:14], v[21:22], off
	s_waitcnt_vscnt null, 0x0
	global_atomic_cmpswap_b64 v[11:12], v15, v[19:22], s[2:3] offset:32 glc
	s_waitcnt vmcnt(0)
	v_cmpx_ne_u64_e64 v[11:12], v[21:22]
	s_cbranch_execz .LBB10_127
; %bb.125:
	s_mov_b32 s7, 0
.LBB10_126:                             ; =>This Inner Loop Header: Depth=1
	v_dual_mov_b32 v9, s4 :: v_dual_mov_b32 v10, s5
	s_sleep 1
	global_store_b64 v[13:14], v[11:12], off
	s_waitcnt_vscnt null, 0x0
	global_atomic_cmpswap_b64 v[9:10], v15, v[9:12], s[2:3] offset:32 glc
	s_waitcnt vmcnt(0)
	v_cmp_eq_u64_e32 vcc_lo, v[9:10], v[11:12]
	v_dual_mov_b32 v12, v10 :: v_dual_mov_b32 v11, v9
	s_or_b32 s7, vcc_lo, s7
	s_delay_alu instid0(SALU_CYCLE_1)
	s_and_not1_b32 exec_lo, exec_lo, s7
	s_cbranch_execnz .LBB10_126
.LBB10_127:
	s_or_b32 exec_lo, exec_lo, s6
	v_mov_b32_e32 v12, 0
	s_mov_b32 s7, exec_lo
	s_mov_b32 s6, exec_lo
	v_mbcnt_lo_u32_b32 v11, s7, 0
	global_load_b64 v[9:10], v12, s[2:3] offset:16
	v_cmpx_eq_u32_e32 0, v11
	s_cbranch_execz .LBB10_129
; %bb.128:
	s_bcnt1_i32_b32 s7, s7
	s_delay_alu instid0(SALU_CYCLE_1)
	v_mov_b32_e32 v11, s7
	s_waitcnt vmcnt(0)
	global_atomic_add_u64 v[9:10], v[11:12], off offset:8
.LBB10_129:
	s_or_b32 exec_lo, exec_lo, s6
	s_waitcnt vmcnt(0)
	global_load_b64 v[11:12], v[9:10], off offset:16
	s_waitcnt vmcnt(0)
	v_cmp_eq_u64_e32 vcc_lo, 0, v[11:12]
	s_cbranch_vccnz .LBB10_131
; %bb.130:
	global_load_b32 v9, v[9:10], off offset:24
	s_waitcnt vmcnt(0)
	v_dual_mov_b32 v10, 0 :: v_dual_and_b32 v13, 0xffffff, v9
	s_waitcnt_vscnt null, 0x0
	global_store_b64 v[11:12], v[9:10], off
	v_readfirstlane_b32 m0, v13
	s_sendmsg sendmsg(MSG_INTERRUPT)
.LBB10_131:
	s_or_b32 exec_lo, exec_lo, s1
	s_branch .LBB10_135
	.p2align	6
.LBB10_132:                             ;   in Loop: Header=BB10_135 Depth=1
	s_or_b32 exec_lo, exec_lo, s1
	s_delay_alu instid0(VALU_DEP_1) | instskip(NEXT) | instid1(VALU_DEP_1)
	v_readfirstlane_b32 s1, v9
	s_cmp_eq_u32 s1, 0
	s_cbranch_scc1 .LBB10_134
; %bb.133:                              ;   in Loop: Header=BB10_135 Depth=1
	s_sleep 1
	s_cbranch_execnz .LBB10_135
	s_branch .LBB10_137
	.p2align	6
.LBB10_134:
	s_branch .LBB10_137
.LBB10_135:                             ; =>This Inner Loop Header: Depth=1
	v_mov_b32_e32 v9, 1
	s_and_saveexec_b32 s1, s0
	s_cbranch_execz .LBB10_132
; %bb.136:                              ;   in Loop: Header=BB10_135 Depth=1
	global_load_b32 v9, v[0:1], off offset:20 glc
	s_waitcnt vmcnt(0)
	buffer_gl1_inv
	buffer_gl0_inv
	v_and_b32_e32 v9, 1, v9
	s_branch .LBB10_132
.LBB10_137:
	global_load_b64 v[9:10], v[17:18], off
	s_and_saveexec_b32 s1, s0
	s_cbranch_execz .LBB10_141
; %bb.138:
	v_mov_b32_e32 v15, 0
	s_clause 0x2
	global_load_b64 v[0:1], v15, s[2:3] offset:40
	global_load_b64 v[16:17], v15, s[2:3] offset:24 glc
	global_load_b64 v[13:14], v15, s[2:3]
	s_waitcnt vmcnt(2)
	v_add_co_u32 v18, vcc_lo, v0, 1
	v_add_co_ci_u32_e32 v19, vcc_lo, 0, v1, vcc_lo
	s_delay_alu instid0(VALU_DEP_2) | instskip(NEXT) | instid1(VALU_DEP_2)
	v_add_co_u32 v11, vcc_lo, v18, s4
	v_add_co_ci_u32_e32 v12, vcc_lo, s5, v19, vcc_lo
	s_delay_alu instid0(VALU_DEP_1) | instskip(SKIP_1) | instid1(VALU_DEP_1)
	v_cmp_eq_u64_e32 vcc_lo, 0, v[11:12]
	v_dual_cndmask_b32 v12, v12, v19 :: v_dual_cndmask_b32 v11, v11, v18
	v_and_b32_e32 v1, v12, v1
	s_delay_alu instid0(VALU_DEP_2) | instskip(NEXT) | instid1(VALU_DEP_2)
	v_and_b32_e32 v0, v11, v0
	v_mul_lo_u32 v1, v1, 24
	s_delay_alu instid0(VALU_DEP_2) | instskip(SKIP_1) | instid1(VALU_DEP_2)
	v_mul_hi_u32 v18, v0, 24
	v_mul_lo_u32 v0, v0, 24
	v_add_nc_u32_e32 v1, v18, v1
	s_waitcnt vmcnt(0)
	s_delay_alu instid0(VALU_DEP_2) | instskip(SKIP_1) | instid1(VALU_DEP_3)
	v_add_co_u32 v0, vcc_lo, v13, v0
	v_mov_b32_e32 v13, v16
	v_add_co_ci_u32_e32 v1, vcc_lo, v14, v1, vcc_lo
	v_mov_b32_e32 v14, v17
	global_store_b64 v[0:1], v[16:17], off
	s_waitcnt_vscnt null, 0x0
	global_atomic_cmpswap_b64 v[13:14], v15, v[11:14], s[2:3] offset:24 glc
	s_waitcnt vmcnt(0)
	v_cmp_ne_u64_e32 vcc_lo, v[13:14], v[16:17]
	s_and_b32 exec_lo, exec_lo, vcc_lo
	s_cbranch_execz .LBB10_141
; %bb.139:
	s_mov_b32 s0, 0
.LBB10_140:                             ; =>This Inner Loop Header: Depth=1
	s_sleep 1
	global_store_b64 v[0:1], v[13:14], off
	s_waitcnt_vscnt null, 0x0
	global_atomic_cmpswap_b64 v[16:17], v15, v[11:14], s[2:3] offset:24 glc
	s_waitcnt vmcnt(0)
	v_cmp_eq_u64_e32 vcc_lo, v[16:17], v[13:14]
	v_dual_mov_b32 v13, v16 :: v_dual_mov_b32 v14, v17
	s_or_b32 s0, vcc_lo, s0
	s_delay_alu instid0(SALU_CYCLE_1)
	s_and_not1_b32 exec_lo, exec_lo, s0
	s_cbranch_execnz .LBB10_140
.LBB10_141:
	s_or_b32 exec_lo, exec_lo, s1
.LBB10_142:
	s_waitcnt vmcnt(0)
	v_dual_mov_b32 v12, v3 :: v_dual_mov_b32 v11, v2
	s_mov_b32 s0, 0
.LBB10_143:                             ; =>This Inner Loop Header: Depth=1
	flat_load_u8 v13, v[11:12]
	v_add_co_u32 v0, vcc_lo, v11, 1
	v_add_co_ci_u32_e32 v1, vcc_lo, 0, v12, vcc_lo
	s_delay_alu instid0(VALU_DEP_1) | instskip(SKIP_3) | instid1(SALU_CYCLE_1)
	v_dual_mov_b32 v12, v1 :: v_dual_mov_b32 v11, v0
	s_waitcnt vmcnt(0) lgkmcnt(0)
	v_cmp_eq_u16_e32 vcc_lo, 0, v13
	s_or_b32 s0, vcc_lo, s0
	s_and_not1_b32 exec_lo, exec_lo, s0
	s_cbranch_execnz .LBB10_143
; %bb.144:
	s_or_b32 exec_lo, exec_lo, s0
	s_delay_alu instid0(SALU_CYCLE_1)
	s_mov_b32 s0, exec_lo
	v_cmpx_ne_u64_e32 0, v[2:3]
	s_xor_b32 s10, exec_lo, s0
	s_cbranch_execz .LBB10_230
; %bb.145:
	v_sub_nc_u32_e32 v0, v0, v2
	v_dual_mov_b32 v13, 0 :: v_dual_and_b32 v50, 2, v9
	v_dual_mov_b32 v14, 2 :: v_dual_and_b32 v9, -3, v9
	s_delay_alu instid0(VALU_DEP_3)
	v_ashrrev_i32_e32 v1, 31, v0
	v_mov_b32_e32 v15, 1
	s_mov_b32 s12, 0
	s_mov_b32 s11, 0
	s_branch .LBB10_147
.LBB10_146:                             ;   in Loop: Header=BB10_147 Depth=1
	s_or_b32 exec_lo, exec_lo, s1
	v_sub_co_u32 v0, vcc_lo, v0, v36
	v_sub_co_ci_u32_e32 v1, vcc_lo, v1, v37, vcc_lo
	v_add_co_u32 v2, s0, v2, v36
	s_delay_alu instid0(VALU_DEP_1) | instskip(NEXT) | instid1(VALU_DEP_3)
	v_add_co_ci_u32_e64 v3, s0, v3, v37, s0
	v_cmp_eq_u64_e32 vcc_lo, 0, v[0:1]
	s_or_b32 s11, vcc_lo, s11
	s_delay_alu instid0(SALU_CYCLE_1)
	s_and_not1_b32 exec_lo, exec_lo, s11
	s_cbranch_execz .LBB10_229
.LBB10_147:                             ; =>This Loop Header: Depth=1
                                        ;     Child Loop BB10_150 Depth 2
                                        ;     Child Loop BB10_158 Depth 2
	;; [unrolled: 1-line block ×11, first 2 shown]
	v_cmp_gt_u64_e32 vcc_lo, 56, v[0:1]
	s_mov_b32 s1, exec_lo
                                        ; implicit-def: $vgpr18_vgpr19
                                        ; implicit-def: $sgpr4
	v_dual_cndmask_b32 v37, 0, v1 :: v_dual_cndmask_b32 v36, 56, v0
	v_cmpx_gt_u64_e32 8, v[0:1]
	s_xor_b32 s1, exec_lo, s1
	s_cbranch_execz .LBB10_153
; %bb.148:                              ;   in Loop: Header=BB10_147 Depth=1
	v_mov_b32_e32 v18, 0
	v_mov_b32_e32 v19, 0
	s_mov_b64 s[4:5], 0
	s_mov_b32 s6, exec_lo
	v_cmpx_ne_u64_e32 0, v[0:1]
	s_cbranch_execz .LBB10_152
; %bb.149:                              ;   in Loop: Header=BB10_147 Depth=1
	s_waitcnt vmcnt(0)
	v_lshlrev_b64 v[11:12], 3, v[36:37]
	v_dual_mov_b32 v18, 0 :: v_dual_mov_b32 v17, v3
	v_dual_mov_b32 v19, 0 :: v_dual_mov_b32 v16, v2
	s_mov_b32 s7, 0
	.p2align	6
.LBB10_150:                             ;   Parent Loop BB10_147 Depth=1
                                        ; =>  This Inner Loop Header: Depth=2
	flat_load_u8 v12, v[16:17]
	v_mov_b32_e32 v21, s12
	v_add_co_u32 v16, vcc_lo, v16, 1
	v_add_co_ci_u32_e32 v17, vcc_lo, 0, v17, vcc_lo
	s_waitcnt vmcnt(0) lgkmcnt(0)
	v_and_b32_e32 v20, 0xffff, v12
	s_delay_alu instid0(VALU_DEP_1) | instskip(SKIP_3) | instid1(VALU_DEP_2)
	v_lshlrev_b64 v[20:21], s4, v[20:21]
	s_add_u32 s4, s4, 8
	s_addc_u32 s5, s5, 0
	v_cmp_eq_u32_e64 s0, s4, v11
	v_or_b32_e32 v19, v21, v19
	s_delay_alu instid0(VALU_DEP_3) | instskip(NEXT) | instid1(VALU_DEP_3)
	v_or_b32_e32 v18, v20, v18
	s_or_b32 s7, s0, s7
	s_delay_alu instid0(SALU_CYCLE_1)
	s_and_not1_b32 exec_lo, exec_lo, s7
	s_cbranch_execnz .LBB10_150
; %bb.151:                              ;   in Loop: Header=BB10_147 Depth=1
	s_or_b32 exec_lo, exec_lo, s7
.LBB10_152:                             ;   in Loop: Header=BB10_147 Depth=1
	s_delay_alu instid0(SALU_CYCLE_1)
	s_or_b32 exec_lo, exec_lo, s6
	s_mov_b32 s4, 0
.LBB10_153:                             ;   in Loop: Header=BB10_147 Depth=1
	s_or_saveexec_b32 s0, s1
	s_waitcnt vmcnt(0)
	v_mov_b32_e32 v12, v3
	v_dual_mov_b32 v16, s4 :: v_dual_mov_b32 v11, v2
	s_xor_b32 exec_lo, exec_lo, s0
	s_cbranch_execz .LBB10_155
; %bb.154:                              ;   in Loop: Header=BB10_147 Depth=1
	flat_load_b64 v[11:12], v[2:3]
	s_waitcnt vmcnt(0) lgkmcnt(0)
	v_and_b32_e32 v16, 0xff, v12
	v_and_b32_e32 v17, 0xff00, v12
	;; [unrolled: 1-line block ×4, first 2 shown]
	v_or3_b32 v18, v11, 0, 0
	v_add_co_u32 v11, vcc_lo, v2, 8
	v_or_b32_e32 v17, v16, v17
	v_add_nc_u32_e32 v16, -8, v36
	s_delay_alu instid0(VALU_DEP_2)
	v_or3_b32 v19, v17, v19, v12
	v_add_co_ci_u32_e32 v12, vcc_lo, 0, v3, vcc_lo
.LBB10_155:                             ;   in Loop: Header=BB10_147 Depth=1
	s_or_b32 exec_lo, exec_lo, s0
                                        ; implicit-def: $vgpr20_vgpr21
                                        ; implicit-def: $sgpr1
	s_delay_alu instid0(SALU_CYCLE_1)
	s_mov_b32 s0, exec_lo
	v_cmpx_gt_u32_e32 8, v16
	s_xor_b32 s6, exec_lo, s0
	s_cbranch_execz .LBB10_161
; %bb.156:                              ;   in Loop: Header=BB10_147 Depth=1
	v_mov_b32_e32 v20, 0
	v_mov_b32_e32 v21, 0
	s_mov_b32 s7, exec_lo
	v_cmpx_ne_u32_e32 0, v16
	s_cbranch_execz .LBB10_160
; %bb.157:                              ;   in Loop: Header=BB10_147 Depth=1
	v_mov_b32_e32 v20, 0
	v_mov_b32_e32 v21, 0
	s_mov_b64 s[0:1], 0
	s_mov_b32 s13, 0
	s_mov_b64 s[4:5], 0
	.p2align	6
.LBB10_158:                             ;   Parent Loop BB10_147 Depth=1
                                        ; =>  This Inner Loop Header: Depth=2
	s_delay_alu instid0(SALU_CYCLE_1)
	v_add_co_u32 v22, vcc_lo, v11, s4
	v_add_co_ci_u32_e32 v23, vcc_lo, s5, v12, vcc_lo
	s_add_u32 s4, s4, 1
	s_addc_u32 s5, s5, 0
	v_cmp_eq_u32_e32 vcc_lo, s4, v16
	flat_load_u8 v17, v[22:23]
	s_waitcnt vmcnt(0) lgkmcnt(0)
	v_dual_mov_b32 v23, s12 :: v_dual_and_b32 v22, 0xffff, v17
	s_delay_alu instid0(VALU_DEP_1) | instskip(SKIP_3) | instid1(VALU_DEP_1)
	v_lshlrev_b64 v[22:23], s0, v[22:23]
	s_add_u32 s0, s0, 8
	s_addc_u32 s1, s1, 0
	s_or_b32 s13, vcc_lo, s13
	v_or_b32_e32 v21, v23, v21
	s_delay_alu instid0(VALU_DEP_2)
	v_or_b32_e32 v20, v22, v20
	s_and_not1_b32 exec_lo, exec_lo, s13
	s_cbranch_execnz .LBB10_158
; %bb.159:                              ;   in Loop: Header=BB10_147 Depth=1
	s_or_b32 exec_lo, exec_lo, s13
.LBB10_160:                             ;   in Loop: Header=BB10_147 Depth=1
	s_delay_alu instid0(SALU_CYCLE_1)
	s_or_b32 exec_lo, exec_lo, s7
	s_mov_b32 s1, 0
                                        ; implicit-def: $vgpr16
.LBB10_161:                             ;   in Loop: Header=BB10_147 Depth=1
	s_or_saveexec_b32 s0, s6
	v_mov_b32_e32 v17, s1
	s_xor_b32 exec_lo, exec_lo, s0
	s_cbranch_execz .LBB10_163
; %bb.162:                              ;   in Loop: Header=BB10_147 Depth=1
	flat_load_b64 v[20:21], v[11:12]
	v_add_co_u32 v11, vcc_lo, v11, 8
	v_add_co_ci_u32_e32 v12, vcc_lo, 0, v12, vcc_lo
	s_waitcnt vmcnt(0) lgkmcnt(0)
	v_and_b32_e32 v17, 0xff, v21
	v_and_b32_e32 v22, 0xff00, v21
	;; [unrolled: 1-line block ×4, first 2 shown]
	v_or3_b32 v20, v20, 0, 0
	s_delay_alu instid0(VALU_DEP_4) | instskip(SKIP_1) | instid1(VALU_DEP_2)
	v_or_b32_e32 v22, v17, v22
	v_add_nc_u32_e32 v17, -8, v16
	v_or3_b32 v21, v22, v23, v21
.LBB10_163:                             ;   in Loop: Header=BB10_147 Depth=1
	s_or_b32 exec_lo, exec_lo, s0
                                        ; implicit-def: $sgpr1
	s_delay_alu instid0(SALU_CYCLE_1) | instskip(NEXT) | instid1(VALU_DEP_1)
	s_mov_b32 s0, exec_lo
	v_cmpx_gt_u32_e32 8, v17
	s_xor_b32 s6, exec_lo, s0
	s_cbranch_execz .LBB10_169
; %bb.164:                              ;   in Loop: Header=BB10_147 Depth=1
	v_mov_b32_e32 v22, 0
	v_mov_b32_e32 v23, 0
	s_mov_b32 s7, exec_lo
	v_cmpx_ne_u32_e32 0, v17
	s_cbranch_execz .LBB10_168
; %bb.165:                              ;   in Loop: Header=BB10_147 Depth=1
	v_mov_b32_e32 v22, 0
	v_mov_b32_e32 v23, 0
	s_mov_b64 s[0:1], 0
	s_mov_b32 s13, 0
	s_mov_b64 s[4:5], 0
	.p2align	6
.LBB10_166:                             ;   Parent Loop BB10_147 Depth=1
                                        ; =>  This Inner Loop Header: Depth=2
	s_delay_alu instid0(SALU_CYCLE_1)
	v_add_co_u32 v24, vcc_lo, v11, s4
	v_add_co_ci_u32_e32 v25, vcc_lo, s5, v12, vcc_lo
	s_add_u32 s4, s4, 1
	s_addc_u32 s5, s5, 0
	v_cmp_eq_u32_e32 vcc_lo, s4, v17
	flat_load_u8 v16, v[24:25]
	s_waitcnt vmcnt(0) lgkmcnt(0)
	v_dual_mov_b32 v25, s12 :: v_dual_and_b32 v24, 0xffff, v16
	s_delay_alu instid0(VALU_DEP_1) | instskip(SKIP_3) | instid1(VALU_DEP_1)
	v_lshlrev_b64 v[24:25], s0, v[24:25]
	s_add_u32 s0, s0, 8
	s_addc_u32 s1, s1, 0
	s_or_b32 s13, vcc_lo, s13
	v_or_b32_e32 v23, v25, v23
	s_delay_alu instid0(VALU_DEP_2)
	v_or_b32_e32 v22, v24, v22
	s_and_not1_b32 exec_lo, exec_lo, s13
	s_cbranch_execnz .LBB10_166
; %bb.167:                              ;   in Loop: Header=BB10_147 Depth=1
	s_or_b32 exec_lo, exec_lo, s13
.LBB10_168:                             ;   in Loop: Header=BB10_147 Depth=1
	s_delay_alu instid0(SALU_CYCLE_1)
	s_or_b32 exec_lo, exec_lo, s7
	s_mov_b32 s1, 0
                                        ; implicit-def: $vgpr17
.LBB10_169:                             ;   in Loop: Header=BB10_147 Depth=1
	s_or_saveexec_b32 s0, s6
	v_mov_b32_e32 v16, s1
	s_xor_b32 exec_lo, exec_lo, s0
	s_cbranch_execz .LBB10_171
; %bb.170:                              ;   in Loop: Header=BB10_147 Depth=1
	flat_load_b64 v[22:23], v[11:12]
	v_add_co_u32 v11, vcc_lo, v11, 8
	v_add_co_ci_u32_e32 v12, vcc_lo, 0, v12, vcc_lo
	s_waitcnt vmcnt(0) lgkmcnt(0)
	v_and_b32_e32 v16, 0xff, v23
	v_and_b32_e32 v24, 0xff00, v23
	;; [unrolled: 1-line block ×4, first 2 shown]
	v_or3_b32 v22, v22, 0, 0
	s_delay_alu instid0(VALU_DEP_4) | instskip(SKIP_1) | instid1(VALU_DEP_2)
	v_or_b32_e32 v24, v16, v24
	v_add_nc_u32_e32 v16, -8, v17
	v_or3_b32 v23, v24, v25, v23
.LBB10_171:                             ;   in Loop: Header=BB10_147 Depth=1
	s_or_b32 exec_lo, exec_lo, s0
                                        ; implicit-def: $vgpr24_vgpr25
                                        ; implicit-def: $sgpr1
	s_delay_alu instid0(SALU_CYCLE_1) | instskip(NEXT) | instid1(VALU_DEP_1)
	s_mov_b32 s0, exec_lo
	v_cmpx_gt_u32_e32 8, v16
	s_xor_b32 s6, exec_lo, s0
	s_cbranch_execz .LBB10_177
; %bb.172:                              ;   in Loop: Header=BB10_147 Depth=1
	v_mov_b32_e32 v24, 0
	v_mov_b32_e32 v25, 0
	s_mov_b32 s7, exec_lo
	v_cmpx_ne_u32_e32 0, v16
	s_cbranch_execz .LBB10_176
; %bb.173:                              ;   in Loop: Header=BB10_147 Depth=1
	v_mov_b32_e32 v24, 0
	v_mov_b32_e32 v25, 0
	s_mov_b64 s[0:1], 0
	s_mov_b32 s13, 0
	s_mov_b64 s[4:5], 0
	.p2align	6
.LBB10_174:                             ;   Parent Loop BB10_147 Depth=1
                                        ; =>  This Inner Loop Header: Depth=2
	s_delay_alu instid0(SALU_CYCLE_1)
	v_add_co_u32 v26, vcc_lo, v11, s4
	v_add_co_ci_u32_e32 v27, vcc_lo, s5, v12, vcc_lo
	s_add_u32 s4, s4, 1
	s_addc_u32 s5, s5, 0
	v_cmp_eq_u32_e32 vcc_lo, s4, v16
	flat_load_u8 v17, v[26:27]
	s_waitcnt vmcnt(0) lgkmcnt(0)
	v_dual_mov_b32 v27, s12 :: v_dual_and_b32 v26, 0xffff, v17
	s_delay_alu instid0(VALU_DEP_1) | instskip(SKIP_3) | instid1(VALU_DEP_1)
	v_lshlrev_b64 v[26:27], s0, v[26:27]
	s_add_u32 s0, s0, 8
	s_addc_u32 s1, s1, 0
	s_or_b32 s13, vcc_lo, s13
	v_or_b32_e32 v25, v27, v25
	s_delay_alu instid0(VALU_DEP_2)
	v_or_b32_e32 v24, v26, v24
	s_and_not1_b32 exec_lo, exec_lo, s13
	s_cbranch_execnz .LBB10_174
; %bb.175:                              ;   in Loop: Header=BB10_147 Depth=1
	s_or_b32 exec_lo, exec_lo, s13
.LBB10_176:                             ;   in Loop: Header=BB10_147 Depth=1
	s_delay_alu instid0(SALU_CYCLE_1)
	s_or_b32 exec_lo, exec_lo, s7
	s_mov_b32 s1, 0
                                        ; implicit-def: $vgpr16
.LBB10_177:                             ;   in Loop: Header=BB10_147 Depth=1
	s_or_saveexec_b32 s0, s6
	v_mov_b32_e32 v17, s1
	s_xor_b32 exec_lo, exec_lo, s0
	s_cbranch_execz .LBB10_179
; %bb.178:                              ;   in Loop: Header=BB10_147 Depth=1
	flat_load_b64 v[24:25], v[11:12]
	v_add_co_u32 v11, vcc_lo, v11, 8
	v_add_co_ci_u32_e32 v12, vcc_lo, 0, v12, vcc_lo
	s_waitcnt vmcnt(0) lgkmcnt(0)
	v_and_b32_e32 v17, 0xff, v25
	v_and_b32_e32 v26, 0xff00, v25
	;; [unrolled: 1-line block ×4, first 2 shown]
	v_or3_b32 v24, v24, 0, 0
	s_delay_alu instid0(VALU_DEP_4) | instskip(SKIP_1) | instid1(VALU_DEP_2)
	v_or_b32_e32 v26, v17, v26
	v_add_nc_u32_e32 v17, -8, v16
	v_or3_b32 v25, v26, v27, v25
.LBB10_179:                             ;   in Loop: Header=BB10_147 Depth=1
	s_or_b32 exec_lo, exec_lo, s0
                                        ; implicit-def: $sgpr1
	s_delay_alu instid0(SALU_CYCLE_1) | instskip(NEXT) | instid1(VALU_DEP_1)
	s_mov_b32 s0, exec_lo
	v_cmpx_gt_u32_e32 8, v17
	s_xor_b32 s6, exec_lo, s0
	s_cbranch_execz .LBB10_185
; %bb.180:                              ;   in Loop: Header=BB10_147 Depth=1
	v_mov_b32_e32 v26, 0
	v_mov_b32_e32 v27, 0
	s_mov_b32 s7, exec_lo
	v_cmpx_ne_u32_e32 0, v17
	s_cbranch_execz .LBB10_184
; %bb.181:                              ;   in Loop: Header=BB10_147 Depth=1
	v_mov_b32_e32 v26, 0
	v_mov_b32_e32 v27, 0
	s_mov_b64 s[0:1], 0
	s_mov_b32 s13, 0
	s_mov_b64 s[4:5], 0
	.p2align	6
.LBB10_182:                             ;   Parent Loop BB10_147 Depth=1
                                        ; =>  This Inner Loop Header: Depth=2
	s_delay_alu instid0(SALU_CYCLE_1)
	v_add_co_u32 v28, vcc_lo, v11, s4
	v_add_co_ci_u32_e32 v29, vcc_lo, s5, v12, vcc_lo
	s_add_u32 s4, s4, 1
	s_addc_u32 s5, s5, 0
	v_cmp_eq_u32_e32 vcc_lo, s4, v17
	flat_load_u8 v16, v[28:29]
	s_waitcnt vmcnt(0) lgkmcnt(0)
	v_dual_mov_b32 v29, s12 :: v_dual_and_b32 v28, 0xffff, v16
	s_delay_alu instid0(VALU_DEP_1) | instskip(SKIP_3) | instid1(VALU_DEP_1)
	v_lshlrev_b64 v[28:29], s0, v[28:29]
	s_add_u32 s0, s0, 8
	s_addc_u32 s1, s1, 0
	s_or_b32 s13, vcc_lo, s13
	v_or_b32_e32 v27, v29, v27
	s_delay_alu instid0(VALU_DEP_2)
	v_or_b32_e32 v26, v28, v26
	s_and_not1_b32 exec_lo, exec_lo, s13
	s_cbranch_execnz .LBB10_182
; %bb.183:                              ;   in Loop: Header=BB10_147 Depth=1
	s_or_b32 exec_lo, exec_lo, s13
.LBB10_184:                             ;   in Loop: Header=BB10_147 Depth=1
	s_delay_alu instid0(SALU_CYCLE_1)
	s_or_b32 exec_lo, exec_lo, s7
	s_mov_b32 s1, 0
                                        ; implicit-def: $vgpr17
.LBB10_185:                             ;   in Loop: Header=BB10_147 Depth=1
	s_or_saveexec_b32 s0, s6
	v_mov_b32_e32 v16, s1
	s_xor_b32 exec_lo, exec_lo, s0
	s_cbranch_execz .LBB10_187
; %bb.186:                              ;   in Loop: Header=BB10_147 Depth=1
	flat_load_b64 v[26:27], v[11:12]
	v_add_co_u32 v11, vcc_lo, v11, 8
	v_add_co_ci_u32_e32 v12, vcc_lo, 0, v12, vcc_lo
	s_waitcnt vmcnt(0) lgkmcnt(0)
	v_and_b32_e32 v16, 0xff, v27
	v_and_b32_e32 v28, 0xff00, v27
	;; [unrolled: 1-line block ×4, first 2 shown]
	v_or3_b32 v26, v26, 0, 0
	s_delay_alu instid0(VALU_DEP_4) | instskip(SKIP_1) | instid1(VALU_DEP_2)
	v_or_b32_e32 v28, v16, v28
	v_add_nc_u32_e32 v16, -8, v17
	v_or3_b32 v27, v28, v29, v27
.LBB10_187:                             ;   in Loop: Header=BB10_147 Depth=1
	s_or_b32 exec_lo, exec_lo, s0
                                        ; implicit-def: $vgpr28_vgpr29
                                        ; implicit-def: $sgpr1
	s_delay_alu instid0(SALU_CYCLE_1) | instskip(NEXT) | instid1(VALU_DEP_1)
	s_mov_b32 s0, exec_lo
	v_cmpx_gt_u32_e32 8, v16
	s_xor_b32 s6, exec_lo, s0
	s_cbranch_execz .LBB10_193
; %bb.188:                              ;   in Loop: Header=BB10_147 Depth=1
	v_mov_b32_e32 v28, 0
	v_mov_b32_e32 v29, 0
	s_mov_b32 s7, exec_lo
	v_cmpx_ne_u32_e32 0, v16
	s_cbranch_execz .LBB10_192
; %bb.189:                              ;   in Loop: Header=BB10_147 Depth=1
	v_mov_b32_e32 v28, 0
	v_mov_b32_e32 v29, 0
	s_mov_b64 s[0:1], 0
	s_mov_b32 s13, 0
	s_mov_b64 s[4:5], 0
	.p2align	6
.LBB10_190:                             ;   Parent Loop BB10_147 Depth=1
                                        ; =>  This Inner Loop Header: Depth=2
	s_delay_alu instid0(SALU_CYCLE_1)
	v_add_co_u32 v30, vcc_lo, v11, s4
	v_add_co_ci_u32_e32 v31, vcc_lo, s5, v12, vcc_lo
	s_add_u32 s4, s4, 1
	s_addc_u32 s5, s5, 0
	v_cmp_eq_u32_e32 vcc_lo, s4, v16
	flat_load_u8 v17, v[30:31]
	s_waitcnt vmcnt(0) lgkmcnt(0)
	v_dual_mov_b32 v31, s12 :: v_dual_and_b32 v30, 0xffff, v17
	s_delay_alu instid0(VALU_DEP_1) | instskip(SKIP_3) | instid1(VALU_DEP_1)
	v_lshlrev_b64 v[30:31], s0, v[30:31]
	s_add_u32 s0, s0, 8
	s_addc_u32 s1, s1, 0
	s_or_b32 s13, vcc_lo, s13
	v_or_b32_e32 v29, v31, v29
	s_delay_alu instid0(VALU_DEP_2)
	v_or_b32_e32 v28, v30, v28
	s_and_not1_b32 exec_lo, exec_lo, s13
	s_cbranch_execnz .LBB10_190
; %bb.191:                              ;   in Loop: Header=BB10_147 Depth=1
	s_or_b32 exec_lo, exec_lo, s13
.LBB10_192:                             ;   in Loop: Header=BB10_147 Depth=1
	s_delay_alu instid0(SALU_CYCLE_1)
	s_or_b32 exec_lo, exec_lo, s7
	s_mov_b32 s1, 0
                                        ; implicit-def: $vgpr16
.LBB10_193:                             ;   in Loop: Header=BB10_147 Depth=1
	s_or_saveexec_b32 s0, s6
	v_mov_b32_e32 v17, s1
	s_xor_b32 exec_lo, exec_lo, s0
	s_cbranch_execz .LBB10_195
; %bb.194:                              ;   in Loop: Header=BB10_147 Depth=1
	flat_load_b64 v[28:29], v[11:12]
	v_add_co_u32 v11, vcc_lo, v11, 8
	v_add_co_ci_u32_e32 v12, vcc_lo, 0, v12, vcc_lo
	s_waitcnt vmcnt(0) lgkmcnt(0)
	v_and_b32_e32 v17, 0xff, v29
	v_and_b32_e32 v30, 0xff00, v29
	;; [unrolled: 1-line block ×4, first 2 shown]
	v_or3_b32 v28, v28, 0, 0
	s_delay_alu instid0(VALU_DEP_4) | instskip(SKIP_1) | instid1(VALU_DEP_2)
	v_or_b32_e32 v30, v17, v30
	v_add_nc_u32_e32 v17, -8, v16
	v_or3_b32 v29, v30, v31, v29
.LBB10_195:                             ;   in Loop: Header=BB10_147 Depth=1
	s_or_b32 exec_lo, exec_lo, s0
	s_delay_alu instid0(SALU_CYCLE_1) | instskip(NEXT) | instid1(VALU_DEP_1)
	s_mov_b32 s0, exec_lo
	v_cmpx_gt_u32_e32 8, v17
	s_xor_b32 s4, exec_lo, s0
	s_cbranch_execz .LBB10_201
; %bb.196:                              ;   in Loop: Header=BB10_147 Depth=1
	v_mov_b32_e32 v30, 0
	v_mov_b32_e32 v31, 0
	s_mov_b32 s5, exec_lo
	v_cmpx_ne_u32_e32 0, v17
	s_cbranch_execz .LBB10_200
; %bb.197:                              ;   in Loop: Header=BB10_147 Depth=1
	v_mov_b32_e32 v30, 0
	v_mov_b32_e32 v31, 0
	s_mov_b64 s[0:1], 0
	s_mov_b32 s6, 0
	.p2align	6
.LBB10_198:                             ;   Parent Loop BB10_147 Depth=1
                                        ; =>  This Inner Loop Header: Depth=2
	flat_load_u8 v16, v[11:12]
	v_mov_b32_e32 v33, s12
	v_add_nc_u32_e32 v17, -1, v17
	v_add_co_u32 v11, vcc_lo, v11, 1
	v_add_co_ci_u32_e32 v12, vcc_lo, 0, v12, vcc_lo
	s_delay_alu instid0(VALU_DEP_3) | instskip(SKIP_2) | instid1(VALU_DEP_1)
	v_cmp_eq_u32_e32 vcc_lo, 0, v17
	s_waitcnt vmcnt(0) lgkmcnt(0)
	v_and_b32_e32 v32, 0xffff, v16
	v_lshlrev_b64 v[32:33], s0, v[32:33]
	s_add_u32 s0, s0, 8
	s_addc_u32 s1, s1, 0
	s_or_b32 s6, vcc_lo, s6
	s_delay_alu instid0(VALU_DEP_1) | instskip(NEXT) | instid1(VALU_DEP_2)
	v_or_b32_e32 v31, v33, v31
	v_or_b32_e32 v30, v32, v30
	s_and_not1_b32 exec_lo, exec_lo, s6
	s_cbranch_execnz .LBB10_198
; %bb.199:                              ;   in Loop: Header=BB10_147 Depth=1
	s_or_b32 exec_lo, exec_lo, s6
.LBB10_200:                             ;   in Loop: Header=BB10_147 Depth=1
	s_delay_alu instid0(SALU_CYCLE_1)
	s_or_b32 exec_lo, exec_lo, s5
                                        ; implicit-def: $vgpr11_vgpr12
.LBB10_201:                             ;   in Loop: Header=BB10_147 Depth=1
	s_and_not1_saveexec_b32 s0, s4
	s_cbranch_execz .LBB10_203
; %bb.202:                              ;   in Loop: Header=BB10_147 Depth=1
	flat_load_b64 v[11:12], v[11:12]
	s_waitcnt vmcnt(0) lgkmcnt(0)
	v_and_b32_e32 v16, 0xff, v12
	v_and_b32_e32 v17, 0xff00, v12
	;; [unrolled: 1-line block ×4, first 2 shown]
	s_delay_alu instid0(VALU_DEP_3) | instskip(NEXT) | instid1(VALU_DEP_1)
	v_or_b32_e32 v16, v16, v17
	v_or3_b32 v31, v16, v30, v12
	v_or3_b32 v30, v11, 0, 0
.LBB10_203:                             ;   in Loop: Header=BB10_147 Depth=1
	s_or_b32 exec_lo, exec_lo, s0
	v_readfirstlane_b32 s0, v49
	v_mov_b32_e32 v11, 0
	v_mov_b32_e32 v12, 0
	s_delay_alu instid0(VALU_DEP_3) | instskip(NEXT) | instid1(VALU_DEP_1)
	v_cmp_eq_u32_e64 s0, s0, v49
	s_and_saveexec_b32 s1, s0
	s_cbranch_execz .LBB10_209
; %bb.204:                              ;   in Loop: Header=BB10_147 Depth=1
	global_load_b64 v[34:35], v13, s[2:3] offset:24 glc
	s_waitcnt vmcnt(0)
	buffer_gl1_inv
	buffer_gl0_inv
	s_clause 0x1
	global_load_b64 v[11:12], v13, s[2:3] offset:40
	global_load_b64 v[16:17], v13, s[2:3]
	s_mov_b32 s4, exec_lo
	s_waitcnt vmcnt(1)
	v_and_b32_e32 v12, v12, v35
	v_and_b32_e32 v11, v11, v34
	s_delay_alu instid0(VALU_DEP_2) | instskip(NEXT) | instid1(VALU_DEP_2)
	v_mul_lo_u32 v12, v12, 24
	v_mul_hi_u32 v32, v11, 24
	v_mul_lo_u32 v11, v11, 24
	s_delay_alu instid0(VALU_DEP_2) | instskip(SKIP_1) | instid1(VALU_DEP_2)
	v_add_nc_u32_e32 v12, v32, v12
	s_waitcnt vmcnt(0)
	v_add_co_u32 v11, vcc_lo, v16, v11
	s_delay_alu instid0(VALU_DEP_2)
	v_add_co_ci_u32_e32 v12, vcc_lo, v17, v12, vcc_lo
	global_load_b64 v[32:33], v[11:12], off glc
	s_waitcnt vmcnt(0)
	global_atomic_cmpswap_b64 v[11:12], v13, v[32:35], s[2:3] offset:24 glc
	s_waitcnt vmcnt(0)
	buffer_gl1_inv
	buffer_gl0_inv
	v_cmpx_ne_u64_e64 v[11:12], v[34:35]
	s_cbranch_execz .LBB10_208
; %bb.205:                              ;   in Loop: Header=BB10_147 Depth=1
	s_mov_b32 s5, 0
	.p2align	6
.LBB10_206:                             ;   Parent Loop BB10_147 Depth=1
                                        ; =>  This Inner Loop Header: Depth=2
	s_sleep 1
	s_clause 0x1
	global_load_b64 v[16:17], v13, s[2:3] offset:40
	global_load_b64 v[32:33], v13, s[2:3]
	v_dual_mov_b32 v35, v12 :: v_dual_mov_b32 v34, v11
	s_waitcnt vmcnt(1)
	s_delay_alu instid0(VALU_DEP_1) | instskip(SKIP_1) | instid1(VALU_DEP_1)
	v_and_b32_e32 v16, v16, v34
	s_waitcnt vmcnt(0)
	v_mad_u64_u32 v[11:12], null, v16, 24, v[32:33]
	v_and_b32_e32 v32, v17, v35
	s_delay_alu instid0(VALU_DEP_1) | instskip(NEXT) | instid1(VALU_DEP_1)
	v_mad_u64_u32 v[16:17], null, v32, 24, v[12:13]
	v_mov_b32_e32 v12, v16
	global_load_b64 v[32:33], v[11:12], off glc
	s_waitcnt vmcnt(0)
	global_atomic_cmpswap_b64 v[11:12], v13, v[32:35], s[2:3] offset:24 glc
	s_waitcnt vmcnt(0)
	buffer_gl1_inv
	buffer_gl0_inv
	v_cmp_eq_u64_e32 vcc_lo, v[11:12], v[34:35]
	s_or_b32 s5, vcc_lo, s5
	s_delay_alu instid0(SALU_CYCLE_1)
	s_and_not1_b32 exec_lo, exec_lo, s5
	s_cbranch_execnz .LBB10_206
; %bb.207:                              ;   in Loop: Header=BB10_147 Depth=1
	s_or_b32 exec_lo, exec_lo, s5
.LBB10_208:                             ;   in Loop: Header=BB10_147 Depth=1
	s_delay_alu instid0(SALU_CYCLE_1)
	s_or_b32 exec_lo, exec_lo, s4
.LBB10_209:                             ;   in Loop: Header=BB10_147 Depth=1
	s_delay_alu instid0(SALU_CYCLE_1)
	s_or_b32 exec_lo, exec_lo, s1
	s_clause 0x1
	global_load_b64 v[16:17], v13, s[2:3] offset:40
	global_load_b128 v[32:35], v13, s[2:3]
	v_readfirstlane_b32 s4, v11
	v_readfirstlane_b32 s5, v12
	s_mov_b32 s1, exec_lo
	s_waitcnt vmcnt(1)
	v_readfirstlane_b32 s6, v16
	v_readfirstlane_b32 s7, v17
	s_delay_alu instid0(VALU_DEP_1) | instskip(NEXT) | instid1(SALU_CYCLE_1)
	s_and_b64 s[6:7], s[4:5], s[6:7]
	s_mul_i32 s13, s7, 24
	s_mul_hi_u32 s14, s6, 24
	s_mul_i32 s15, s6, 24
	s_add_i32 s14, s14, s13
	s_waitcnt vmcnt(0)
	v_add_co_u32 v38, vcc_lo, v32, s15
	v_add_co_ci_u32_e32 v39, vcc_lo, s14, v33, vcc_lo
	s_and_saveexec_b32 s13, s0
	s_cbranch_execz .LBB10_211
; %bb.210:                              ;   in Loop: Header=BB10_147 Depth=1
	v_mov_b32_e32 v12, s1
	global_store_b128 v[38:39], v[12:15], off offset:8
.LBB10_211:                             ;   in Loop: Header=BB10_147 Depth=1
	s_or_b32 exec_lo, exec_lo, s13
	v_cmp_lt_u64_e32 vcc_lo, 56, v[0:1]
	v_or_b32_e32 v11, 0, v10
	v_or_b32_e32 v12, v9, v50
	v_lshl_add_u32 v16, v36, 2, 28
	s_lshl_b64 s[6:7], s[6:7], 12
	s_delay_alu instid0(SALU_CYCLE_1) | instskip(NEXT) | instid1(VALU_DEP_1)
	v_add_co_u32 v34, s1, v34, s6
	v_add_co_ci_u32_e64 v35, s1, s7, v35, s1
	s_delay_alu instid0(VALU_DEP_3) | instskip(SKIP_1) | instid1(VALU_DEP_4)
	v_dual_cndmask_b32 v17, v11, v10 :: v_dual_and_b32 v10, 0x1e0, v16
	v_cndmask_b32_e32 v9, v12, v9, vcc_lo
	v_readfirstlane_b32 s6, v34
	s_delay_alu instid0(VALU_DEP_4) | instskip(NEXT) | instid1(VALU_DEP_3)
	v_readfirstlane_b32 s7, v35
	v_and_or_b32 v16, 0xffffff1f, v9, v10
	s_clause 0x3
	global_store_b128 v48, v[16:19], s[6:7]
	global_store_b128 v48, v[20:23], s[6:7] offset:16
	global_store_b128 v48, v[24:27], s[6:7] offset:32
	;; [unrolled: 1-line block ×3, first 2 shown]
	s_and_saveexec_b32 s1, s0
	s_cbranch_execz .LBB10_219
; %bb.212:                              ;   in Loop: Header=BB10_147 Depth=1
	s_clause 0x1
	global_load_b64 v[20:21], v13, s[2:3] offset:32 glc
	global_load_b64 v[9:10], v13, s[2:3] offset:40
	v_dual_mov_b32 v18, s4 :: v_dual_mov_b32 v19, s5
	s_waitcnt vmcnt(0)
	v_readfirstlane_b32 s6, v9
	v_readfirstlane_b32 s7, v10
	s_delay_alu instid0(VALU_DEP_1) | instskip(NEXT) | instid1(SALU_CYCLE_1)
	s_and_b64 s[6:7], s[6:7], s[4:5]
	s_mul_i32 s7, s7, 24
	s_mul_hi_u32 s13, s6, 24
	s_mul_i32 s6, s6, 24
	s_add_i32 s13, s13, s7
	v_add_co_u32 v16, vcc_lo, v32, s6
	v_add_co_ci_u32_e32 v17, vcc_lo, s13, v33, vcc_lo
	s_mov_b32 s6, exec_lo
	global_store_b64 v[16:17], v[20:21], off
	s_waitcnt_vscnt null, 0x0
	global_atomic_cmpswap_b64 v[11:12], v13, v[18:21], s[2:3] offset:32 glc
	s_waitcnt vmcnt(0)
	v_cmpx_ne_u64_e64 v[11:12], v[20:21]
	s_cbranch_execz .LBB10_215
; %bb.213:                              ;   in Loop: Header=BB10_147 Depth=1
	s_mov_b32 s7, 0
.LBB10_214:                             ;   Parent Loop BB10_147 Depth=1
                                        ; =>  This Inner Loop Header: Depth=2
	v_dual_mov_b32 v9, s4 :: v_dual_mov_b32 v10, s5
	s_sleep 1
	global_store_b64 v[16:17], v[11:12], off
	s_waitcnt_vscnt null, 0x0
	global_atomic_cmpswap_b64 v[9:10], v13, v[9:12], s[2:3] offset:32 glc
	s_waitcnt vmcnt(0)
	v_cmp_eq_u64_e32 vcc_lo, v[9:10], v[11:12]
	v_dual_mov_b32 v12, v10 :: v_dual_mov_b32 v11, v9
	s_or_b32 s7, vcc_lo, s7
	s_delay_alu instid0(SALU_CYCLE_1)
	s_and_not1_b32 exec_lo, exec_lo, s7
	s_cbranch_execnz .LBB10_214
.LBB10_215:                             ;   in Loop: Header=BB10_147 Depth=1
	s_or_b32 exec_lo, exec_lo, s6
	global_load_b64 v[9:10], v13, s[2:3] offset:16
	s_mov_b32 s7, exec_lo
	s_mov_b32 s6, exec_lo
	v_mbcnt_lo_u32_b32 v11, s7, 0
	s_delay_alu instid0(VALU_DEP_1)
	v_cmpx_eq_u32_e32 0, v11
	s_cbranch_execz .LBB10_217
; %bb.216:                              ;   in Loop: Header=BB10_147 Depth=1
	s_bcnt1_i32_b32 s7, s7
	s_delay_alu instid0(SALU_CYCLE_1)
	v_mov_b32_e32 v12, s7
	s_waitcnt vmcnt(0)
	global_atomic_add_u64 v[9:10], v[12:13], off offset:8
.LBB10_217:                             ;   in Loop: Header=BB10_147 Depth=1
	s_or_b32 exec_lo, exec_lo, s6
	s_waitcnt vmcnt(0)
	global_load_b64 v[16:17], v[9:10], off offset:16
	s_waitcnt vmcnt(0)
	v_cmp_eq_u64_e32 vcc_lo, 0, v[16:17]
	s_cbranch_vccnz .LBB10_219
; %bb.218:                              ;   in Loop: Header=BB10_147 Depth=1
	global_load_b32 v12, v[9:10], off offset:24
	s_waitcnt vmcnt(0)
	v_and_b32_e32 v9, 0xffffff, v12
	s_waitcnt_vscnt null, 0x0
	global_store_b64 v[16:17], v[12:13], off
	v_readfirstlane_b32 m0, v9
	s_sendmsg sendmsg(MSG_INTERRUPT)
.LBB10_219:                             ;   in Loop: Header=BB10_147 Depth=1
	s_or_b32 exec_lo, exec_lo, s1
	v_add_co_u32 v9, vcc_lo, v34, v48
	v_add_co_ci_u32_e32 v10, vcc_lo, 0, v35, vcc_lo
	s_branch .LBB10_223
	.p2align	6
.LBB10_220:                             ;   in Loop: Header=BB10_223 Depth=2
	s_or_b32 exec_lo, exec_lo, s1
	s_delay_alu instid0(VALU_DEP_1) | instskip(NEXT) | instid1(VALU_DEP_1)
	v_readfirstlane_b32 s1, v11
	s_cmp_eq_u32 s1, 0
	s_cbranch_scc1 .LBB10_222
; %bb.221:                              ;   in Loop: Header=BB10_223 Depth=2
	s_sleep 1
	s_cbranch_execnz .LBB10_223
	s_branch .LBB10_225
	.p2align	6
.LBB10_222:                             ;   in Loop: Header=BB10_147 Depth=1
	s_branch .LBB10_225
.LBB10_223:                             ;   Parent Loop BB10_147 Depth=1
                                        ; =>  This Inner Loop Header: Depth=2
	v_mov_b32_e32 v11, 1
	s_and_saveexec_b32 s1, s0
	s_cbranch_execz .LBB10_220
; %bb.224:                              ;   in Loop: Header=BB10_223 Depth=2
	global_load_b32 v11, v[38:39], off offset:20 glc
	s_waitcnt vmcnt(0)
	buffer_gl1_inv
	buffer_gl0_inv
	v_and_b32_e32 v11, 1, v11
	s_branch .LBB10_220
.LBB10_225:                             ;   in Loop: Header=BB10_147 Depth=1
	global_load_b128 v[9:12], v[9:10], off
	s_and_saveexec_b32 s1, s0
	s_cbranch_execz .LBB10_146
; %bb.226:                              ;   in Loop: Header=BB10_147 Depth=1
	s_clause 0x2
	global_load_b64 v[11:12], v13, s[2:3] offset:40
	global_load_b64 v[20:21], v13, s[2:3] offset:24 glc
	global_load_b64 v[18:19], v13, s[2:3]
	s_waitcnt vmcnt(2)
	v_add_co_u32 v22, vcc_lo, v11, 1
	v_add_co_ci_u32_e32 v23, vcc_lo, 0, v12, vcc_lo
	s_delay_alu instid0(VALU_DEP_2) | instskip(NEXT) | instid1(VALU_DEP_2)
	v_add_co_u32 v16, vcc_lo, v22, s4
	v_add_co_ci_u32_e32 v17, vcc_lo, s5, v23, vcc_lo
	s_delay_alu instid0(VALU_DEP_1) | instskip(SKIP_1) | instid1(VALU_DEP_1)
	v_cmp_eq_u64_e32 vcc_lo, 0, v[16:17]
	v_dual_cndmask_b32 v17, v17, v23 :: v_dual_cndmask_b32 v16, v16, v22
	v_and_b32_e32 v12, v17, v12
	s_delay_alu instid0(VALU_DEP_2) | instskip(NEXT) | instid1(VALU_DEP_2)
	v_and_b32_e32 v11, v16, v11
	v_mul_lo_u32 v12, v12, 24
	s_delay_alu instid0(VALU_DEP_2) | instskip(SKIP_1) | instid1(VALU_DEP_2)
	v_mul_hi_u32 v22, v11, 24
	v_mul_lo_u32 v11, v11, 24
	v_add_nc_u32_e32 v12, v22, v12
	s_waitcnt vmcnt(0)
	s_delay_alu instid0(VALU_DEP_2) | instskip(SKIP_1) | instid1(VALU_DEP_3)
	v_add_co_u32 v11, vcc_lo, v18, v11
	v_mov_b32_e32 v18, v20
	v_add_co_ci_u32_e32 v12, vcc_lo, v19, v12, vcc_lo
	v_mov_b32_e32 v19, v21
	global_store_b64 v[11:12], v[20:21], off
	s_waitcnt_vscnt null, 0x0
	global_atomic_cmpswap_b64 v[18:19], v13, v[16:19], s[2:3] offset:24 glc
	s_waitcnt vmcnt(0)
	v_cmp_ne_u64_e32 vcc_lo, v[18:19], v[20:21]
	s_and_b32 exec_lo, exec_lo, vcc_lo
	s_cbranch_execz .LBB10_146
; %bb.227:                              ;   in Loop: Header=BB10_147 Depth=1
	s_mov_b32 s0, 0
.LBB10_228:                             ;   Parent Loop BB10_147 Depth=1
                                        ; =>  This Inner Loop Header: Depth=2
	s_sleep 1
	global_store_b64 v[11:12], v[18:19], off
	s_waitcnt_vscnt null, 0x0
	global_atomic_cmpswap_b64 v[20:21], v13, v[16:19], s[2:3] offset:24 glc
	s_waitcnt vmcnt(0)
	v_cmp_eq_u64_e32 vcc_lo, v[20:21], v[18:19]
	v_dual_mov_b32 v18, v20 :: v_dual_mov_b32 v19, v21
	s_or_b32 s0, vcc_lo, s0
	s_delay_alu instid0(SALU_CYCLE_1)
	s_and_not1_b32 exec_lo, exec_lo, s0
	s_cbranch_execnz .LBB10_228
	s_branch .LBB10_146
.LBB10_229:
	s_or_b32 exec_lo, exec_lo, s11
.LBB10_230:
	s_and_not1_saveexec_b32 s1, s10
	s_cbranch_execz .LBB10_258
; %bb.231:
	v_readfirstlane_b32 s0, v49
	s_waitcnt vmcnt(0)
	v_mov_b32_e32 v12, 0
	v_mov_b32_e32 v13, 0
	s_delay_alu instid0(VALU_DEP_3) | instskip(NEXT) | instid1(VALU_DEP_1)
	v_cmp_eq_u32_e64 s0, s0, v49
	s_and_saveexec_b32 s4, s0
	s_cbranch_execz .LBB10_237
; %bb.232:
	v_mov_b32_e32 v0, 0
	s_mov_b32 s5, exec_lo
	global_load_b64 v[14:15], v0, s[2:3] offset:24 glc
	s_waitcnt vmcnt(0)
	buffer_gl1_inv
	buffer_gl0_inv
	s_clause 0x1
	global_load_b64 v[1:2], v0, s[2:3] offset:40
	global_load_b64 v[11:12], v0, s[2:3]
	s_waitcnt vmcnt(1)
	v_and_b32_e32 v1, v1, v14
	v_and_b32_e32 v2, v2, v15
	s_delay_alu instid0(VALU_DEP_2) | instskip(NEXT) | instid1(VALU_DEP_2)
	v_mul_hi_u32 v3, v1, 24
	v_mul_lo_u32 v2, v2, 24
	v_mul_lo_u32 v1, v1, 24
	s_delay_alu instid0(VALU_DEP_2) | instskip(SKIP_1) | instid1(VALU_DEP_2)
	v_add_nc_u32_e32 v2, v3, v2
	s_waitcnt vmcnt(0)
	v_add_co_u32 v1, vcc_lo, v11, v1
	s_delay_alu instid0(VALU_DEP_2)
	v_add_co_ci_u32_e32 v2, vcc_lo, v12, v2, vcc_lo
	global_load_b64 v[12:13], v[1:2], off glc
	s_waitcnt vmcnt(0)
	global_atomic_cmpswap_b64 v[12:13], v0, v[12:15], s[2:3] offset:24 glc
	s_waitcnt vmcnt(0)
	buffer_gl1_inv
	buffer_gl0_inv
	v_cmpx_ne_u64_e64 v[12:13], v[14:15]
	s_cbranch_execz .LBB10_236
; %bb.233:
	s_mov_b32 s6, 0
	.p2align	6
.LBB10_234:                             ; =>This Inner Loop Header: Depth=1
	s_sleep 1
	s_clause 0x1
	global_load_b64 v[1:2], v0, s[2:3] offset:40
	global_load_b64 v[16:17], v0, s[2:3]
	v_dual_mov_b32 v15, v13 :: v_dual_mov_b32 v14, v12
	s_waitcnt vmcnt(1)
	s_delay_alu instid0(VALU_DEP_1) | instskip(NEXT) | instid1(VALU_DEP_2)
	v_and_b32_e32 v1, v1, v14
	v_and_b32_e32 v13, v2, v15
	s_waitcnt vmcnt(0)
	s_delay_alu instid0(VALU_DEP_2) | instskip(NEXT) | instid1(VALU_DEP_1)
	v_mad_u64_u32 v[11:12], null, v1, 24, v[16:17]
	v_mov_b32_e32 v1, v12
	s_delay_alu instid0(VALU_DEP_1) | instskip(NEXT) | instid1(VALU_DEP_1)
	v_mad_u64_u32 v[2:3], null, v13, 24, v[1:2]
	v_mov_b32_e32 v12, v2
	global_load_b64 v[12:13], v[11:12], off glc
	s_waitcnt vmcnt(0)
	global_atomic_cmpswap_b64 v[12:13], v0, v[12:15], s[2:3] offset:24 glc
	s_waitcnt vmcnt(0)
	buffer_gl1_inv
	buffer_gl0_inv
	v_cmp_eq_u64_e32 vcc_lo, v[12:13], v[14:15]
	s_or_b32 s6, vcc_lo, s6
	s_delay_alu instid0(SALU_CYCLE_1)
	s_and_not1_b32 exec_lo, exec_lo, s6
	s_cbranch_execnz .LBB10_234
; %bb.235:
	s_or_b32 exec_lo, exec_lo, s6
.LBB10_236:
	s_delay_alu instid0(SALU_CYCLE_1)
	s_or_b32 exec_lo, exec_lo, s5
.LBB10_237:
	s_delay_alu instid0(SALU_CYCLE_1)
	s_or_b32 exec_lo, exec_lo, s4
	v_mov_b32_e32 v11, 0
	v_readfirstlane_b32 s4, v12
	v_readfirstlane_b32 s5, v13
	s_mov_b32 s10, exec_lo
	s_clause 0x1
	global_load_b64 v[14:15], v11, s[2:3] offset:40
	global_load_b128 v[0:3], v11, s[2:3]
	s_waitcnt vmcnt(1)
	v_readfirstlane_b32 s6, v14
	v_readfirstlane_b32 s7, v15
	s_delay_alu instid0(VALU_DEP_1) | instskip(NEXT) | instid1(SALU_CYCLE_1)
	s_and_b64 s[6:7], s[4:5], s[6:7]
	s_mul_i32 s11, s7, 24
	s_mul_hi_u32 s12, s6, 24
	s_mul_i32 s13, s6, 24
	s_add_i32 s12, s12, s11
	s_waitcnt vmcnt(0)
	v_add_co_u32 v13, vcc_lo, v0, s13
	v_add_co_ci_u32_e32 v14, vcc_lo, s12, v1, vcc_lo
	s_and_saveexec_b32 s11, s0
	s_cbranch_execz .LBB10_239
; %bb.238:
	v_dual_mov_b32 v15, s10 :: v_dual_mov_b32 v16, v11
	v_dual_mov_b32 v17, 2 :: v_dual_mov_b32 v18, 1
	global_store_b128 v[13:14], v[15:18], off offset:8
.LBB10_239:
	s_or_b32 exec_lo, exec_lo, s11
	s_lshl_b64 s[6:7], s[6:7], 12
	s_mov_b32 s12, 0
	v_add_co_u32 v2, vcc_lo, v2, s6
	v_add_co_ci_u32_e32 v3, vcc_lo, s7, v3, vcc_lo
	s_mov_b32 s15, s12
	s_delay_alu instid0(VALU_DEP_2)
	v_add_co_u32 v15, vcc_lo, v2, v48
	s_mov_b32 s13, s12
	s_mov_b32 s14, s12
	v_and_or_b32 v9, 0xffffff1f, v9, 32
	v_mov_b32_e32 v12, v11
	v_readfirstlane_b32 s6, v2
	v_readfirstlane_b32 s7, v3
	v_dual_mov_b32 v20, s15 :: v_dual_mov_b32 v17, s12
	v_add_co_ci_u32_e32 v16, vcc_lo, 0, v3, vcc_lo
	v_dual_mov_b32 v19, s14 :: v_dual_mov_b32 v18, s13
	s_clause 0x3
	global_store_b128 v48, v[9:12], s[6:7]
	global_store_b128 v48, v[17:20], s[6:7] offset:16
	global_store_b128 v48, v[17:20], s[6:7] offset:32
	global_store_b128 v48, v[17:20], s[6:7] offset:48
	s_and_saveexec_b32 s6, s0
	s_cbranch_execz .LBB10_247
; %bb.240:
	v_dual_mov_b32 v11, 0 :: v_dual_mov_b32 v18, s5
	v_mov_b32_e32 v17, s4
	s_clause 0x1
	global_load_b64 v[19:20], v11, s[2:3] offset:32 glc
	global_load_b64 v[2:3], v11, s[2:3] offset:40
	s_waitcnt vmcnt(0)
	v_readfirstlane_b32 s10, v2
	v_readfirstlane_b32 s11, v3
	s_delay_alu instid0(VALU_DEP_1) | instskip(NEXT) | instid1(SALU_CYCLE_1)
	s_and_b64 s[10:11], s[10:11], s[4:5]
	s_mul_i32 s7, s11, 24
	s_mul_hi_u32 s11, s10, 24
	s_mul_i32 s10, s10, 24
	s_add_i32 s11, s11, s7
	v_add_co_u32 v9, vcc_lo, v0, s10
	v_add_co_ci_u32_e32 v10, vcc_lo, s11, v1, vcc_lo
	s_mov_b32 s7, exec_lo
	global_store_b64 v[9:10], v[19:20], off
	s_waitcnt_vscnt null, 0x0
	global_atomic_cmpswap_b64 v[2:3], v11, v[17:20], s[2:3] offset:32 glc
	s_waitcnt vmcnt(0)
	v_cmpx_ne_u64_e64 v[2:3], v[19:20]
	s_cbranch_execz .LBB10_243
; %bb.241:
	s_mov_b32 s10, 0
.LBB10_242:                             ; =>This Inner Loop Header: Depth=1
	v_dual_mov_b32 v0, s4 :: v_dual_mov_b32 v1, s5
	s_sleep 1
	global_store_b64 v[9:10], v[2:3], off
	s_waitcnt_vscnt null, 0x0
	global_atomic_cmpswap_b64 v[0:1], v11, v[0:3], s[2:3] offset:32 glc
	s_waitcnt vmcnt(0)
	v_cmp_eq_u64_e32 vcc_lo, v[0:1], v[2:3]
	v_dual_mov_b32 v3, v1 :: v_dual_mov_b32 v2, v0
	s_or_b32 s10, vcc_lo, s10
	s_delay_alu instid0(SALU_CYCLE_1)
	s_and_not1_b32 exec_lo, exec_lo, s10
	s_cbranch_execnz .LBB10_242
.LBB10_243:
	s_or_b32 exec_lo, exec_lo, s7
	v_mov_b32_e32 v3, 0
	s_mov_b32 s10, exec_lo
	s_mov_b32 s7, exec_lo
	v_mbcnt_lo_u32_b32 v2, s10, 0
	global_load_b64 v[0:1], v3, s[2:3] offset:16
	v_cmpx_eq_u32_e32 0, v2
	s_cbranch_execz .LBB10_245
; %bb.244:
	s_bcnt1_i32_b32 s10, s10
	s_delay_alu instid0(SALU_CYCLE_1)
	v_mov_b32_e32 v2, s10
	s_waitcnt vmcnt(0)
	global_atomic_add_u64 v[0:1], v[2:3], off offset:8
.LBB10_245:
	s_or_b32 exec_lo, exec_lo, s7
	s_waitcnt vmcnt(0)
	global_load_b64 v[2:3], v[0:1], off offset:16
	s_waitcnt vmcnt(0)
	v_cmp_eq_u64_e32 vcc_lo, 0, v[2:3]
	s_cbranch_vccnz .LBB10_247
; %bb.246:
	global_load_b32 v0, v[0:1], off offset:24
	v_mov_b32_e32 v1, 0
	s_waitcnt vmcnt(0)
	v_and_b32_e32 v9, 0xffffff, v0
	s_waitcnt_vscnt null, 0x0
	global_store_b64 v[2:3], v[0:1], off
	v_readfirstlane_b32 m0, v9
	s_sendmsg sendmsg(MSG_INTERRUPT)
.LBB10_247:
	s_or_b32 exec_lo, exec_lo, s6
	s_branch .LBB10_251
	.p2align	6
.LBB10_248:                             ;   in Loop: Header=BB10_251 Depth=1
	s_or_b32 exec_lo, exec_lo, s6
	s_delay_alu instid0(VALU_DEP_1) | instskip(NEXT) | instid1(VALU_DEP_1)
	v_readfirstlane_b32 s6, v0
	s_cmp_eq_u32 s6, 0
	s_cbranch_scc1 .LBB10_250
; %bb.249:                              ;   in Loop: Header=BB10_251 Depth=1
	s_sleep 1
	s_cbranch_execnz .LBB10_251
	s_branch .LBB10_253
	.p2align	6
.LBB10_250:
	s_branch .LBB10_253
.LBB10_251:                             ; =>This Inner Loop Header: Depth=1
	v_mov_b32_e32 v0, 1
	s_and_saveexec_b32 s6, s0
	s_cbranch_execz .LBB10_248
; %bb.252:                              ;   in Loop: Header=BB10_251 Depth=1
	global_load_b32 v0, v[13:14], off offset:20 glc
	s_waitcnt vmcnt(0)
	buffer_gl1_inv
	buffer_gl0_inv
	v_and_b32_e32 v0, 1, v0
	s_branch .LBB10_248
.LBB10_253:
	global_load_b64 v[9:10], v[15:16], off
	s_and_saveexec_b32 s6, s0
	s_cbranch_execz .LBB10_257
; %bb.254:
	v_mov_b32_e32 v13, 0
	s_clause 0x2
	global_load_b64 v[2:3], v13, s[2:3] offset:40
	global_load_b64 v[14:15], v13, s[2:3] offset:24 glc
	global_load_b64 v[11:12], v13, s[2:3]
	s_waitcnt vmcnt(2)
	v_add_co_u32 v16, vcc_lo, v2, 1
	v_add_co_ci_u32_e32 v17, vcc_lo, 0, v3, vcc_lo
	s_delay_alu instid0(VALU_DEP_2) | instskip(NEXT) | instid1(VALU_DEP_2)
	v_add_co_u32 v0, vcc_lo, v16, s4
	v_add_co_ci_u32_e32 v1, vcc_lo, s5, v17, vcc_lo
	s_delay_alu instid0(VALU_DEP_1) | instskip(SKIP_1) | instid1(VALU_DEP_1)
	v_cmp_eq_u64_e32 vcc_lo, 0, v[0:1]
	v_dual_cndmask_b32 v0, v0, v16 :: v_dual_cndmask_b32 v1, v1, v17
	v_and_b32_e32 v2, v0, v2
	s_delay_alu instid0(VALU_DEP_2) | instskip(NEXT) | instid1(VALU_DEP_2)
	v_and_b32_e32 v3, v1, v3
	v_mul_hi_u32 v16, v2, 24
	v_mul_lo_u32 v2, v2, 24
	s_waitcnt vmcnt(0)
	s_delay_alu instid0(VALU_DEP_1) | instskip(SKIP_2) | instid1(VALU_DEP_1)
	v_add_co_u32 v11, vcc_lo, v11, v2
	v_mov_b32_e32 v2, v14
	v_mul_lo_u32 v3, v3, 24
	v_add_nc_u32_e32 v3, v16, v3
	s_delay_alu instid0(VALU_DEP_1)
	v_add_co_ci_u32_e32 v12, vcc_lo, v12, v3, vcc_lo
	v_mov_b32_e32 v3, v15
	global_store_b64 v[11:12], v[14:15], off
	s_waitcnt_vscnt null, 0x0
	global_atomic_cmpswap_b64 v[2:3], v13, v[0:3], s[2:3] offset:24 glc
	s_waitcnt vmcnt(0)
	v_cmp_ne_u64_e32 vcc_lo, v[2:3], v[14:15]
	s_and_b32 exec_lo, exec_lo, vcc_lo
	s_cbranch_execz .LBB10_257
; %bb.255:
	s_mov_b32 s0, 0
.LBB10_256:                             ; =>This Inner Loop Header: Depth=1
	s_sleep 1
	global_store_b64 v[11:12], v[2:3], off
	s_waitcnt_vscnt null, 0x0
	global_atomic_cmpswap_b64 v[14:15], v13, v[0:3], s[2:3] offset:24 glc
	s_waitcnt vmcnt(0)
	v_cmp_eq_u64_e32 vcc_lo, v[14:15], v[2:3]
	v_dual_mov_b32 v2, v14 :: v_dual_mov_b32 v3, v15
	s_or_b32 s0, vcc_lo, s0
	s_delay_alu instid0(SALU_CYCLE_1)
	s_and_not1_b32 exec_lo, exec_lo, s0
	s_cbranch_execnz .LBB10_256
.LBB10_257:
	s_or_b32 exec_lo, exec_lo, s6
.LBB10_258:
	s_delay_alu instid0(SALU_CYCLE_1) | instskip(SKIP_3) | instid1(VALU_DEP_3)
	s_or_b32 exec_lo, exec_lo, s1
	v_readfirstlane_b32 s0, v49
	v_mov_b32_e32 v13, 0
	v_mov_b32_e32 v14, 0
	v_cmp_eq_u32_e64 s0, s0, v49
	s_delay_alu instid0(VALU_DEP_1)
	s_and_saveexec_b32 s1, s0
	s_cbranch_execz .LBB10_264
; %bb.259:
	v_mov_b32_e32 v0, 0
	s_mov_b32 s4, exec_lo
	global_load_b64 v[15:16], v0, s[2:3] offset:24 glc
	s_waitcnt vmcnt(0)
	buffer_gl1_inv
	buffer_gl0_inv
	s_clause 0x1
	global_load_b64 v[1:2], v0, s[2:3] offset:40
	global_load_b64 v[11:12], v0, s[2:3]
	s_waitcnt vmcnt(1)
	v_and_b32_e32 v1, v1, v15
	v_and_b32_e32 v2, v2, v16
	s_delay_alu instid0(VALU_DEP_2) | instskip(NEXT) | instid1(VALU_DEP_2)
	v_mul_hi_u32 v3, v1, 24
	v_mul_lo_u32 v2, v2, 24
	v_mul_lo_u32 v1, v1, 24
	s_delay_alu instid0(VALU_DEP_2) | instskip(SKIP_1) | instid1(VALU_DEP_2)
	v_add_nc_u32_e32 v2, v3, v2
	s_waitcnt vmcnt(0)
	v_add_co_u32 v1, vcc_lo, v11, v1
	s_delay_alu instid0(VALU_DEP_2)
	v_add_co_ci_u32_e32 v2, vcc_lo, v12, v2, vcc_lo
	global_load_b64 v[13:14], v[1:2], off glc
	s_waitcnt vmcnt(0)
	global_atomic_cmpswap_b64 v[13:14], v0, v[13:16], s[2:3] offset:24 glc
	s_waitcnt vmcnt(0)
	buffer_gl1_inv
	buffer_gl0_inv
	v_cmpx_ne_u64_e64 v[13:14], v[15:16]
	s_cbranch_execz .LBB10_263
; %bb.260:
	s_mov_b32 s5, 0
	.p2align	6
.LBB10_261:                             ; =>This Inner Loop Header: Depth=1
	s_sleep 1
	s_clause 0x1
	global_load_b64 v[1:2], v0, s[2:3] offset:40
	global_load_b64 v[11:12], v0, s[2:3]
	v_dual_mov_b32 v16, v14 :: v_dual_mov_b32 v15, v13
	s_waitcnt vmcnt(1)
	s_delay_alu instid0(VALU_DEP_1) | instskip(SKIP_1) | instid1(VALU_DEP_1)
	v_and_b32_e32 v1, v1, v15
	s_waitcnt vmcnt(0)
	v_mad_u64_u32 v[13:14], null, v1, 24, v[11:12]
	v_and_b32_e32 v11, v2, v16
	s_delay_alu instid0(VALU_DEP_2) | instskip(NEXT) | instid1(VALU_DEP_1)
	v_mov_b32_e32 v1, v14
	v_mad_u64_u32 v[2:3], null, v11, 24, v[1:2]
	s_delay_alu instid0(VALU_DEP_1)
	v_mov_b32_e32 v14, v2
	global_load_b64 v[13:14], v[13:14], off glc
	s_waitcnt vmcnt(0)
	global_atomic_cmpswap_b64 v[13:14], v0, v[13:16], s[2:3] offset:24 glc
	s_waitcnt vmcnt(0)
	buffer_gl1_inv
	buffer_gl0_inv
	v_cmp_eq_u64_e32 vcc_lo, v[13:14], v[15:16]
	s_or_b32 s5, vcc_lo, s5
	s_delay_alu instid0(SALU_CYCLE_1)
	s_and_not1_b32 exec_lo, exec_lo, s5
	s_cbranch_execnz .LBB10_261
; %bb.262:
	s_or_b32 exec_lo, exec_lo, s5
.LBB10_263:
	s_delay_alu instid0(SALU_CYCLE_1)
	s_or_b32 exec_lo, exec_lo, s4
.LBB10_264:
	s_delay_alu instid0(SALU_CYCLE_1)
	s_or_b32 exec_lo, exec_lo, s1
	s_waitcnt vmcnt(0)
	v_mov_b32_e32 v12, 0
	v_readfirstlane_b32 s4, v13
	v_readfirstlane_b32 s5, v14
	s_mov_b32 s1, exec_lo
	s_clause 0x1
	global_load_b64 v[15:16], v12, s[2:3] offset:40
	global_load_b128 v[0:3], v12, s[2:3]
	s_waitcnt vmcnt(1)
	v_readfirstlane_b32 s6, v15
	v_readfirstlane_b32 s7, v16
	s_delay_alu instid0(VALU_DEP_1) | instskip(NEXT) | instid1(SALU_CYCLE_1)
	s_and_b64 s[6:7], s[4:5], s[6:7]
	s_mul_i32 s10, s7, 24
	s_mul_hi_u32 s11, s6, 24
	s_mul_i32 s12, s6, 24
	s_add_i32 s11, s11, s10
	s_waitcnt vmcnt(0)
	v_add_co_u32 v13, vcc_lo, v0, s12
	v_add_co_ci_u32_e32 v14, vcc_lo, s11, v1, vcc_lo
	s_and_saveexec_b32 s10, s0
	s_cbranch_execz .LBB10_266
; %bb.265:
	v_dual_mov_b32 v11, s1 :: v_dual_mov_b32 v18, 1
	v_dual_mov_b32 v17, 2 :: v_dual_mov_b32 v16, v12
	s_delay_alu instid0(VALU_DEP_2)
	v_mov_b32_e32 v15, v11
	global_store_b128 v[13:14], v[15:18], off offset:8
.LBB10_266:
	s_or_b32 exec_lo, exec_lo, s10
	s_lshl_b64 s[6:7], s[6:7], 12
	s_mov_b32 s12, 0
	v_add_co_u32 v2, vcc_lo, v2, s6
	v_add_co_ci_u32_e32 v3, vcc_lo, s7, v3, vcc_lo
	s_mov_b32 s15, s12
	s_delay_alu instid0(VALU_DEP_2)
	v_add_co_u32 v15, vcc_lo, v2, v48
	s_mov_b32 s13, s12
	s_mov_b32 s14, s12
	v_and_or_b32 v9, 0xffffff1f, v9, 32
	v_dual_mov_b32 v11, v4 :: v_dual_mov_b32 v20, s15
	v_readfirstlane_b32 s6, v2
	v_readfirstlane_b32 s7, v3
	v_add_co_ci_u32_e32 v16, vcc_lo, 0, v3, vcc_lo
	v_dual_mov_b32 v19, s14 :: v_dual_mov_b32 v18, s13
	v_mov_b32_e32 v17, s12
	s_clause 0x3
	global_store_b128 v48, v[9:12], s[6:7]
	global_store_b128 v48, v[17:20], s[6:7] offset:16
	global_store_b128 v48, v[17:20], s[6:7] offset:32
	;; [unrolled: 1-line block ×3, first 2 shown]
	s_and_saveexec_b32 s1, s0
	s_cbranch_execz .LBB10_274
; %bb.267:
	v_dual_mov_b32 v4, 0 :: v_dual_mov_b32 v17, s4
	v_mov_b32_e32 v18, s5
	s_clause 0x1
	global_load_b64 v[19:20], v4, s[2:3] offset:32 glc
	global_load_b64 v[2:3], v4, s[2:3] offset:40
	s_waitcnt vmcnt(0)
	v_readfirstlane_b32 s6, v2
	v_readfirstlane_b32 s7, v3
	s_delay_alu instid0(VALU_DEP_1) | instskip(NEXT) | instid1(SALU_CYCLE_1)
	s_and_b64 s[6:7], s[6:7], s[4:5]
	s_mul_i32 s7, s7, 24
	s_mul_hi_u32 s10, s6, 24
	s_mul_i32 s6, s6, 24
	s_add_i32 s10, s10, s7
	v_add_co_u32 v9, vcc_lo, v0, s6
	v_add_co_ci_u32_e32 v10, vcc_lo, s10, v1, vcc_lo
	s_mov_b32 s6, exec_lo
	global_store_b64 v[9:10], v[19:20], off
	s_waitcnt_vscnt null, 0x0
	global_atomic_cmpswap_b64 v[2:3], v4, v[17:20], s[2:3] offset:32 glc
	s_waitcnt vmcnt(0)
	v_cmpx_ne_u64_e64 v[2:3], v[19:20]
	s_cbranch_execz .LBB10_270
; %bb.268:
	s_mov_b32 s7, 0
.LBB10_269:                             ; =>This Inner Loop Header: Depth=1
	v_dual_mov_b32 v0, s4 :: v_dual_mov_b32 v1, s5
	s_sleep 1
	global_store_b64 v[9:10], v[2:3], off
	s_waitcnt_vscnt null, 0x0
	global_atomic_cmpswap_b64 v[0:1], v4, v[0:3], s[2:3] offset:32 glc
	s_waitcnt vmcnt(0)
	v_cmp_eq_u64_e32 vcc_lo, v[0:1], v[2:3]
	v_dual_mov_b32 v3, v1 :: v_dual_mov_b32 v2, v0
	s_or_b32 s7, vcc_lo, s7
	s_delay_alu instid0(SALU_CYCLE_1)
	s_and_not1_b32 exec_lo, exec_lo, s7
	s_cbranch_execnz .LBB10_269
.LBB10_270:
	s_or_b32 exec_lo, exec_lo, s6
	v_mov_b32_e32 v3, 0
	s_mov_b32 s7, exec_lo
	s_mov_b32 s6, exec_lo
	v_mbcnt_lo_u32_b32 v2, s7, 0
	global_load_b64 v[0:1], v3, s[2:3] offset:16
	v_cmpx_eq_u32_e32 0, v2
	s_cbranch_execz .LBB10_272
; %bb.271:
	s_bcnt1_i32_b32 s7, s7
	s_delay_alu instid0(SALU_CYCLE_1)
	v_mov_b32_e32 v2, s7
	s_waitcnt vmcnt(0)
	global_atomic_add_u64 v[0:1], v[2:3], off offset:8
.LBB10_272:
	s_or_b32 exec_lo, exec_lo, s6
	s_waitcnt vmcnt(0)
	global_load_b64 v[2:3], v[0:1], off offset:16
	s_waitcnt vmcnt(0)
	v_cmp_eq_u64_e32 vcc_lo, 0, v[2:3]
	s_cbranch_vccnz .LBB10_274
; %bb.273:
	global_load_b32 v0, v[0:1], off offset:24
	s_waitcnt vmcnt(0)
	v_dual_mov_b32 v1, 0 :: v_dual_and_b32 v4, 0xffffff, v0
	s_waitcnt_vscnt null, 0x0
	global_store_b64 v[2:3], v[0:1], off
	v_readfirstlane_b32 m0, v4
	s_sendmsg sendmsg(MSG_INTERRUPT)
.LBB10_274:
	s_or_b32 exec_lo, exec_lo, s1
	s_branch .LBB10_278
	.p2align	6
.LBB10_275:                             ;   in Loop: Header=BB10_278 Depth=1
	s_or_b32 exec_lo, exec_lo, s1
	s_delay_alu instid0(VALU_DEP_1) | instskip(NEXT) | instid1(VALU_DEP_1)
	v_readfirstlane_b32 s1, v0
	s_cmp_eq_u32 s1, 0
	s_cbranch_scc1 .LBB10_277
; %bb.276:                              ;   in Loop: Header=BB10_278 Depth=1
	s_sleep 1
	s_cbranch_execnz .LBB10_278
	s_branch .LBB10_280
	.p2align	6
.LBB10_277:
	s_branch .LBB10_280
.LBB10_278:                             ; =>This Inner Loop Header: Depth=1
	v_mov_b32_e32 v0, 1
	s_and_saveexec_b32 s1, s0
	s_cbranch_execz .LBB10_275
; %bb.279:                              ;   in Loop: Header=BB10_278 Depth=1
	global_load_b32 v0, v[13:14], off offset:20 glc
	s_waitcnt vmcnt(0)
	buffer_gl1_inv
	buffer_gl0_inv
	v_and_b32_e32 v0, 1, v0
	s_branch .LBB10_275
.LBB10_280:
	global_load_b64 v[0:1], v[15:16], off
	s_and_saveexec_b32 s1, s0
	s_cbranch_execz .LBB10_284
; %bb.281:
	v_mov_b32_e32 v4, 0
	s_clause 0x2
	global_load_b64 v[2:3], v4, s[2:3] offset:40
	global_load_b64 v[13:14], v4, s[2:3] offset:24 glc
	global_load_b64 v[11:12], v4, s[2:3]
	s_waitcnt vmcnt(2)
	v_add_co_u32 v15, vcc_lo, v2, 1
	v_add_co_ci_u32_e32 v16, vcc_lo, 0, v3, vcc_lo
	s_delay_alu instid0(VALU_DEP_2) | instskip(NEXT) | instid1(VALU_DEP_2)
	v_add_co_u32 v9, vcc_lo, v15, s4
	v_add_co_ci_u32_e32 v10, vcc_lo, s5, v16, vcc_lo
	s_delay_alu instid0(VALU_DEP_1) | instskip(SKIP_1) | instid1(VALU_DEP_1)
	v_cmp_eq_u64_e32 vcc_lo, 0, v[9:10]
	v_cndmask_b32_e32 v9, v9, v15, vcc_lo
	v_and_b32_e32 v2, v9, v2
	s_delay_alu instid0(VALU_DEP_1) | instskip(SKIP_2) | instid1(VALU_DEP_2)
	v_mul_hi_u32 v15, v2, 24
	v_cndmask_b32_e32 v10, v10, v16, vcc_lo
	v_mul_lo_u32 v2, v2, 24
	v_and_b32_e32 v3, v10, v3
	s_waitcnt vmcnt(0)
	s_delay_alu instid0(VALU_DEP_2) | instskip(NEXT) | instid1(VALU_DEP_2)
	v_add_co_u32 v2, vcc_lo, v11, v2
	v_mul_lo_u32 v3, v3, 24
	v_mov_b32_e32 v11, v13
	s_delay_alu instid0(VALU_DEP_2) | instskip(NEXT) | instid1(VALU_DEP_1)
	v_add_nc_u32_e32 v3, v15, v3
	v_add_co_ci_u32_e32 v3, vcc_lo, v12, v3, vcc_lo
	v_mov_b32_e32 v12, v14
	global_store_b64 v[2:3], v[13:14], off
	s_waitcnt_vscnt null, 0x0
	global_atomic_cmpswap_b64 v[11:12], v4, v[9:12], s[2:3] offset:24 glc
	s_waitcnt vmcnt(0)
	v_cmp_ne_u64_e32 vcc_lo, v[11:12], v[13:14]
	s_and_b32 exec_lo, exec_lo, vcc_lo
	s_cbranch_execz .LBB10_284
; %bb.282:
	s_mov_b32 s0, 0
.LBB10_283:                             ; =>This Inner Loop Header: Depth=1
	s_sleep 1
	global_store_b64 v[2:3], v[11:12], off
	s_waitcnt_vscnt null, 0x0
	global_atomic_cmpswap_b64 v[13:14], v4, v[9:12], s[2:3] offset:24 glc
	s_waitcnt vmcnt(0)
	v_cmp_eq_u64_e32 vcc_lo, v[13:14], v[11:12]
	v_dual_mov_b32 v11, v13 :: v_dual_mov_b32 v12, v14
	s_or_b32 s0, vcc_lo, s0
	s_delay_alu instid0(SALU_CYCLE_1)
	s_and_not1_b32 exec_lo, exec_lo, s0
	s_cbranch_execnz .LBB10_283
.LBB10_284:
	s_or_b32 exec_lo, exec_lo, s1
	v_dual_mov_b32 v3, v5 :: v_dual_mov_b32 v4, v6
	s_mov_b32 s0, 0
.LBB10_285:                             ; =>This Inner Loop Header: Depth=1
	flat_load_u8 v9, v[3:4]
	v_add_co_u32 v2, vcc_lo, v3, 1
	v_add_co_ci_u32_e32 v3, vcc_lo, 0, v4, vcc_lo
	s_delay_alu instid0(VALU_DEP_1) | instskip(NEXT) | instid1(VALU_DEP_3)
	v_mov_b32_e32 v4, v3
	v_mov_b32_e32 v3, v2
	s_waitcnt vmcnt(0) lgkmcnt(0)
	v_cmp_eq_u16_e32 vcc_lo, 0, v9
	s_or_b32 s0, vcc_lo, s0
	s_delay_alu instid0(SALU_CYCLE_1)
	s_and_not1_b32 exec_lo, exec_lo, s0
	s_cbranch_execnz .LBB10_285
; %bb.286:
	s_or_b32 exec_lo, exec_lo, s0
	s_delay_alu instid0(SALU_CYCLE_1)
	s_mov_b32 s0, exec_lo
	v_cmpx_ne_u64_e32 0, v[5:6]
	s_xor_b32 s10, exec_lo, s0
	s_cbranch_execz .LBB10_372
; %bb.287:
	v_sub_nc_u32_e32 v29, v2, v5
	v_dual_mov_b32 v11, 2 :: v_dual_and_b32 v4, 2, v0
	v_mov_b32_e32 v10, 0
	v_and_b32_e32 v0, -3, v0
	s_delay_alu instid0(VALU_DEP_4)
	v_ashrrev_i32_e32 v30, 31, v29
	v_mov_b32_e32 v12, 1
	s_mov_b32 s12, 0
	s_mov_b32 s11, 0
	s_branch .LBB10_289
.LBB10_288:                             ;   in Loop: Header=BB10_289 Depth=1
	s_or_b32 exec_lo, exec_lo, s1
	v_sub_co_u32 v29, vcc_lo, v29, v31
	v_sub_co_ci_u32_e32 v30, vcc_lo, v30, v32, vcc_lo
	v_add_co_u32 v5, s0, v5, v31
	s_delay_alu instid0(VALU_DEP_1) | instskip(NEXT) | instid1(VALU_DEP_3)
	v_add_co_ci_u32_e64 v6, s0, v6, v32, s0
	v_cmp_eq_u64_e32 vcc_lo, 0, v[29:30]
	s_or_b32 s11, vcc_lo, s11
	s_delay_alu instid0(SALU_CYCLE_1)
	s_and_not1_b32 exec_lo, exec_lo, s11
	s_cbranch_execz .LBB10_371
.LBB10_289:                             ; =>This Loop Header: Depth=1
                                        ;     Child Loop BB10_292 Depth 2
                                        ;     Child Loop BB10_300 Depth 2
	;; [unrolled: 1-line block ×11, first 2 shown]
	v_cmp_gt_u64_e32 vcc_lo, 56, v[29:30]
	s_mov_b32 s1, exec_lo
                                        ; implicit-def: $vgpr2_vgpr3
                                        ; implicit-def: $sgpr4
	v_dual_cndmask_b32 v32, 0, v30 :: v_dual_cndmask_b32 v31, 56, v29
	v_cmpx_gt_u64_e32 8, v[29:30]
	s_xor_b32 s1, exec_lo, s1
	s_cbranch_execz .LBB10_295
; %bb.290:                              ;   in Loop: Header=BB10_289 Depth=1
	s_waitcnt vmcnt(0)
	v_mov_b32_e32 v2, 0
	v_mov_b32_e32 v3, 0
	s_mov_b64 s[4:5], 0
	s_mov_b32 s6, exec_lo
	v_cmpx_ne_u64_e32 0, v[29:30]
	s_cbranch_execz .LBB10_294
; %bb.291:                              ;   in Loop: Header=BB10_289 Depth=1
	v_lshlrev_b64 v[13:14], 3, v[31:32]
	v_dual_mov_b32 v2, 0 :: v_dual_mov_b32 v15, v6
	v_dual_mov_b32 v3, 0 :: v_dual_mov_b32 v14, v5
	s_mov_b32 s7, 0
	.p2align	6
.LBB10_292:                             ;   Parent Loop BB10_289 Depth=1
                                        ; =>  This Inner Loop Header: Depth=2
	flat_load_u8 v9, v[14:15]
	v_mov_b32_e32 v17, s12
	v_add_co_u32 v14, vcc_lo, v14, 1
	v_add_co_ci_u32_e32 v15, vcc_lo, 0, v15, vcc_lo
	s_waitcnt vmcnt(0) lgkmcnt(0)
	v_and_b32_e32 v16, 0xffff, v9
	s_delay_alu instid0(VALU_DEP_1) | instskip(SKIP_3) | instid1(VALU_DEP_2)
	v_lshlrev_b64 v[16:17], s4, v[16:17]
	s_add_u32 s4, s4, 8
	s_addc_u32 s5, s5, 0
	v_cmp_eq_u32_e64 s0, s4, v13
	v_or_b32_e32 v3, v17, v3
	s_delay_alu instid0(VALU_DEP_3) | instskip(NEXT) | instid1(VALU_DEP_3)
	v_or_b32_e32 v2, v16, v2
	s_or_b32 s7, s0, s7
	s_delay_alu instid0(SALU_CYCLE_1)
	s_and_not1_b32 exec_lo, exec_lo, s7
	s_cbranch_execnz .LBB10_292
; %bb.293:                              ;   in Loop: Header=BB10_289 Depth=1
	s_or_b32 exec_lo, exec_lo, s7
.LBB10_294:                             ;   in Loop: Header=BB10_289 Depth=1
	s_delay_alu instid0(SALU_CYCLE_1)
	s_or_b32 exec_lo, exec_lo, s6
	s_mov_b32 s4, 0
.LBB10_295:                             ;   in Loop: Header=BB10_289 Depth=1
	s_or_saveexec_b32 s0, s1
	v_dual_mov_b32 v9, s4 :: v_dual_mov_b32 v26, v6
	v_mov_b32_e32 v25, v5
	s_xor_b32 exec_lo, exec_lo, s0
	s_cbranch_execz .LBB10_297
; %bb.296:                              ;   in Loop: Header=BB10_289 Depth=1
	s_waitcnt vmcnt(0)
	flat_load_b64 v[2:3], v[5:6]
	v_add_co_u32 v25, vcc_lo, v5, 8
	v_add_co_ci_u32_e32 v26, vcc_lo, 0, v6, vcc_lo
	s_waitcnt vmcnt(0) lgkmcnt(0)
	v_and_b32_e32 v9, 0xff, v3
	v_and_b32_e32 v13, 0xff00, v3
	;; [unrolled: 1-line block ×4, first 2 shown]
	v_or3_b32 v2, v2, 0, 0
	s_delay_alu instid0(VALU_DEP_4) | instskip(SKIP_1) | instid1(VALU_DEP_2)
	v_or_b32_e32 v13, v9, v13
	v_add_nc_u32_e32 v9, -8, v31
	v_or3_b32 v3, v13, v14, v3
.LBB10_297:                             ;   in Loop: Header=BB10_289 Depth=1
	s_or_b32 exec_lo, exec_lo, s0
                                        ; implicit-def: $vgpr13_vgpr14
                                        ; implicit-def: $sgpr1
	s_delay_alu instid0(SALU_CYCLE_1) | instskip(NEXT) | instid1(VALU_DEP_2)
	s_mov_b32 s0, exec_lo
	v_cmpx_gt_u32_e32 8, v9
	s_xor_b32 s6, exec_lo, s0
	s_cbranch_execz .LBB10_303
; %bb.298:                              ;   in Loop: Header=BB10_289 Depth=1
	v_mov_b32_e32 v13, 0
	v_mov_b32_e32 v14, 0
	s_mov_b32 s7, exec_lo
	v_cmpx_ne_u32_e32 0, v9
	s_cbranch_execz .LBB10_302
; %bb.299:                              ;   in Loop: Header=BB10_289 Depth=1
	v_mov_b32_e32 v13, 0
	v_mov_b32_e32 v14, 0
	s_mov_b64 s[0:1], 0
	s_mov_b32 s13, 0
	s_mov_b64 s[4:5], 0
	.p2align	6
.LBB10_300:                             ;   Parent Loop BB10_289 Depth=1
                                        ; =>  This Inner Loop Header: Depth=2
	s_delay_alu instid0(SALU_CYCLE_1)
	v_add_co_u32 v15, vcc_lo, v25, s4
	v_add_co_ci_u32_e32 v16, vcc_lo, s5, v26, vcc_lo
	s_add_u32 s4, s4, 1
	s_addc_u32 s5, s5, 0
	v_cmp_eq_u32_e32 vcc_lo, s4, v9
	flat_load_u8 v15, v[15:16]
	s_waitcnt vmcnt(0) lgkmcnt(0)
	v_dual_mov_b32 v16, s12 :: v_dual_and_b32 v15, 0xffff, v15
	s_delay_alu instid0(VALU_DEP_1) | instskip(SKIP_3) | instid1(VALU_DEP_1)
	v_lshlrev_b64 v[15:16], s0, v[15:16]
	s_add_u32 s0, s0, 8
	s_addc_u32 s1, s1, 0
	s_or_b32 s13, vcc_lo, s13
	v_or_b32_e32 v14, v16, v14
	s_delay_alu instid0(VALU_DEP_2)
	v_or_b32_e32 v13, v15, v13
	s_and_not1_b32 exec_lo, exec_lo, s13
	s_cbranch_execnz .LBB10_300
; %bb.301:                              ;   in Loop: Header=BB10_289 Depth=1
	s_or_b32 exec_lo, exec_lo, s13
.LBB10_302:                             ;   in Loop: Header=BB10_289 Depth=1
	s_delay_alu instid0(SALU_CYCLE_1)
	s_or_b32 exec_lo, exec_lo, s7
	s_mov_b32 s1, 0
                                        ; implicit-def: $vgpr9
.LBB10_303:                             ;   in Loop: Header=BB10_289 Depth=1
	s_or_saveexec_b32 s0, s6
	v_mov_b32_e32 v17, s1
	s_xor_b32 exec_lo, exec_lo, s0
	s_cbranch_execz .LBB10_305
; %bb.304:                              ;   in Loop: Header=BB10_289 Depth=1
	flat_load_b64 v[13:14], v[25:26]
	v_add_co_u32 v25, vcc_lo, v25, 8
	v_add_nc_u32_e32 v17, -8, v9
	v_add_co_ci_u32_e32 v26, vcc_lo, 0, v26, vcc_lo
	s_waitcnt vmcnt(0) lgkmcnt(0)
	v_and_b32_e32 v15, 0xff, v14
	v_and_b32_e32 v16, 0xff00, v14
	;; [unrolled: 1-line block ×4, first 2 shown]
	v_or3_b32 v13, v13, 0, 0
	s_delay_alu instid0(VALU_DEP_4) | instskip(NEXT) | instid1(VALU_DEP_1)
	v_or_b32_e32 v15, v15, v16
	v_or3_b32 v14, v15, v18, v14
.LBB10_305:                             ;   in Loop: Header=BB10_289 Depth=1
	s_or_b32 exec_lo, exec_lo, s0
                                        ; implicit-def: $sgpr1
	s_delay_alu instid0(SALU_CYCLE_1)
	s_mov_b32 s0, exec_lo
	v_cmpx_gt_u32_e32 8, v17
	s_xor_b32 s6, exec_lo, s0
	s_cbranch_execz .LBB10_311
; %bb.306:                              ;   in Loop: Header=BB10_289 Depth=1
	v_mov_b32_e32 v15, 0
	v_mov_b32_e32 v16, 0
	s_mov_b32 s7, exec_lo
	v_cmpx_ne_u32_e32 0, v17
	s_cbranch_execz .LBB10_310
; %bb.307:                              ;   in Loop: Header=BB10_289 Depth=1
	v_mov_b32_e32 v15, 0
	v_mov_b32_e32 v16, 0
	s_mov_b64 s[0:1], 0
	s_mov_b32 s13, 0
	s_mov_b64 s[4:5], 0
	.p2align	6
.LBB10_308:                             ;   Parent Loop BB10_289 Depth=1
                                        ; =>  This Inner Loop Header: Depth=2
	s_delay_alu instid0(SALU_CYCLE_1)
	v_add_co_u32 v18, vcc_lo, v25, s4
	v_add_co_ci_u32_e32 v19, vcc_lo, s5, v26, vcc_lo
	s_add_u32 s4, s4, 1
	s_addc_u32 s5, s5, 0
	v_cmp_eq_u32_e32 vcc_lo, s4, v17
	flat_load_u8 v9, v[18:19]
	s_waitcnt vmcnt(0) lgkmcnt(0)
	v_dual_mov_b32 v19, s12 :: v_dual_and_b32 v18, 0xffff, v9
	s_delay_alu instid0(VALU_DEP_1) | instskip(SKIP_3) | instid1(VALU_DEP_1)
	v_lshlrev_b64 v[18:19], s0, v[18:19]
	s_add_u32 s0, s0, 8
	s_addc_u32 s1, s1, 0
	s_or_b32 s13, vcc_lo, s13
	v_or_b32_e32 v16, v19, v16
	s_delay_alu instid0(VALU_DEP_2)
	v_or_b32_e32 v15, v18, v15
	s_and_not1_b32 exec_lo, exec_lo, s13
	s_cbranch_execnz .LBB10_308
; %bb.309:                              ;   in Loop: Header=BB10_289 Depth=1
	s_or_b32 exec_lo, exec_lo, s13
.LBB10_310:                             ;   in Loop: Header=BB10_289 Depth=1
	s_delay_alu instid0(SALU_CYCLE_1)
	s_or_b32 exec_lo, exec_lo, s7
	s_mov_b32 s1, 0
                                        ; implicit-def: $vgpr17
.LBB10_311:                             ;   in Loop: Header=BB10_289 Depth=1
	s_or_saveexec_b32 s0, s6
	v_mov_b32_e32 v9, s1
	s_xor_b32 exec_lo, exec_lo, s0
	s_cbranch_execz .LBB10_313
; %bb.312:                              ;   in Loop: Header=BB10_289 Depth=1
	flat_load_b64 v[15:16], v[25:26]
	v_add_co_u32 v25, vcc_lo, v25, 8
	v_add_co_ci_u32_e32 v26, vcc_lo, 0, v26, vcc_lo
	s_waitcnt vmcnt(0) lgkmcnt(0)
	v_and_b32_e32 v9, 0xff, v16
	v_and_b32_e32 v18, 0xff00, v16
	;; [unrolled: 1-line block ×4, first 2 shown]
	v_or3_b32 v15, v15, 0, 0
	s_delay_alu instid0(VALU_DEP_4) | instskip(SKIP_1) | instid1(VALU_DEP_2)
	v_or_b32_e32 v18, v9, v18
	v_add_nc_u32_e32 v9, -8, v17
	v_or3_b32 v16, v18, v19, v16
.LBB10_313:                             ;   in Loop: Header=BB10_289 Depth=1
	s_or_b32 exec_lo, exec_lo, s0
                                        ; implicit-def: $vgpr17_vgpr18
                                        ; implicit-def: $sgpr1
	s_delay_alu instid0(SALU_CYCLE_1) | instskip(NEXT) | instid1(VALU_DEP_1)
	s_mov_b32 s0, exec_lo
	v_cmpx_gt_u32_e32 8, v9
	s_xor_b32 s6, exec_lo, s0
	s_cbranch_execz .LBB10_319
; %bb.314:                              ;   in Loop: Header=BB10_289 Depth=1
	v_mov_b32_e32 v17, 0
	v_mov_b32_e32 v18, 0
	s_mov_b32 s7, exec_lo
	v_cmpx_ne_u32_e32 0, v9
	s_cbranch_execz .LBB10_318
; %bb.315:                              ;   in Loop: Header=BB10_289 Depth=1
	v_mov_b32_e32 v17, 0
	v_mov_b32_e32 v18, 0
	s_mov_b64 s[0:1], 0
	s_mov_b32 s13, 0
	s_mov_b64 s[4:5], 0
	.p2align	6
.LBB10_316:                             ;   Parent Loop BB10_289 Depth=1
                                        ; =>  This Inner Loop Header: Depth=2
	s_delay_alu instid0(SALU_CYCLE_1)
	v_add_co_u32 v19, vcc_lo, v25, s4
	v_add_co_ci_u32_e32 v20, vcc_lo, s5, v26, vcc_lo
	s_add_u32 s4, s4, 1
	s_addc_u32 s5, s5, 0
	v_cmp_eq_u32_e32 vcc_lo, s4, v9
	flat_load_u8 v19, v[19:20]
	s_waitcnt vmcnt(0) lgkmcnt(0)
	v_dual_mov_b32 v20, s12 :: v_dual_and_b32 v19, 0xffff, v19
	s_delay_alu instid0(VALU_DEP_1) | instskip(SKIP_3) | instid1(VALU_DEP_1)
	v_lshlrev_b64 v[19:20], s0, v[19:20]
	s_add_u32 s0, s0, 8
	s_addc_u32 s1, s1, 0
	s_or_b32 s13, vcc_lo, s13
	v_or_b32_e32 v18, v20, v18
	s_delay_alu instid0(VALU_DEP_2)
	v_or_b32_e32 v17, v19, v17
	s_and_not1_b32 exec_lo, exec_lo, s13
	s_cbranch_execnz .LBB10_316
; %bb.317:                              ;   in Loop: Header=BB10_289 Depth=1
	s_or_b32 exec_lo, exec_lo, s13
.LBB10_318:                             ;   in Loop: Header=BB10_289 Depth=1
	s_delay_alu instid0(SALU_CYCLE_1)
	s_or_b32 exec_lo, exec_lo, s7
	s_mov_b32 s1, 0
                                        ; implicit-def: $vgpr9
.LBB10_319:                             ;   in Loop: Header=BB10_289 Depth=1
	s_or_saveexec_b32 s0, s6
	v_mov_b32_e32 v21, s1
	s_xor_b32 exec_lo, exec_lo, s0
	s_cbranch_execz .LBB10_321
; %bb.320:                              ;   in Loop: Header=BB10_289 Depth=1
	flat_load_b64 v[17:18], v[25:26]
	v_add_co_u32 v25, vcc_lo, v25, 8
	v_add_nc_u32_e32 v21, -8, v9
	v_add_co_ci_u32_e32 v26, vcc_lo, 0, v26, vcc_lo
	s_waitcnt vmcnt(0) lgkmcnt(0)
	v_and_b32_e32 v19, 0xff, v18
	v_and_b32_e32 v20, 0xff00, v18
	;; [unrolled: 1-line block ×4, first 2 shown]
	v_or3_b32 v17, v17, 0, 0
	s_delay_alu instid0(VALU_DEP_4) | instskip(NEXT) | instid1(VALU_DEP_1)
	v_or_b32_e32 v19, v19, v20
	v_or3_b32 v18, v19, v22, v18
.LBB10_321:                             ;   in Loop: Header=BB10_289 Depth=1
	s_or_b32 exec_lo, exec_lo, s0
                                        ; implicit-def: $sgpr1
	s_delay_alu instid0(SALU_CYCLE_1)
	s_mov_b32 s0, exec_lo
	v_cmpx_gt_u32_e32 8, v21
	s_xor_b32 s6, exec_lo, s0
	s_cbranch_execz .LBB10_327
; %bb.322:                              ;   in Loop: Header=BB10_289 Depth=1
	v_mov_b32_e32 v19, 0
	v_mov_b32_e32 v20, 0
	s_mov_b32 s7, exec_lo
	v_cmpx_ne_u32_e32 0, v21
	s_cbranch_execz .LBB10_326
; %bb.323:                              ;   in Loop: Header=BB10_289 Depth=1
	v_mov_b32_e32 v19, 0
	v_mov_b32_e32 v20, 0
	s_mov_b64 s[0:1], 0
	s_mov_b32 s13, 0
	s_mov_b64 s[4:5], 0
	.p2align	6
.LBB10_324:                             ;   Parent Loop BB10_289 Depth=1
                                        ; =>  This Inner Loop Header: Depth=2
	s_delay_alu instid0(SALU_CYCLE_1)
	v_add_co_u32 v22, vcc_lo, v25, s4
	v_add_co_ci_u32_e32 v23, vcc_lo, s5, v26, vcc_lo
	s_add_u32 s4, s4, 1
	s_addc_u32 s5, s5, 0
	v_cmp_eq_u32_e32 vcc_lo, s4, v21
	flat_load_u8 v9, v[22:23]
	s_waitcnt vmcnt(0) lgkmcnt(0)
	v_dual_mov_b32 v23, s12 :: v_dual_and_b32 v22, 0xffff, v9
	s_delay_alu instid0(VALU_DEP_1) | instskip(SKIP_3) | instid1(VALU_DEP_1)
	v_lshlrev_b64 v[22:23], s0, v[22:23]
	s_add_u32 s0, s0, 8
	s_addc_u32 s1, s1, 0
	s_or_b32 s13, vcc_lo, s13
	v_or_b32_e32 v20, v23, v20
	s_delay_alu instid0(VALU_DEP_2)
	v_or_b32_e32 v19, v22, v19
	s_and_not1_b32 exec_lo, exec_lo, s13
	s_cbranch_execnz .LBB10_324
; %bb.325:                              ;   in Loop: Header=BB10_289 Depth=1
	s_or_b32 exec_lo, exec_lo, s13
.LBB10_326:                             ;   in Loop: Header=BB10_289 Depth=1
	s_delay_alu instid0(SALU_CYCLE_1)
	s_or_b32 exec_lo, exec_lo, s7
	s_mov_b32 s1, 0
                                        ; implicit-def: $vgpr21
.LBB10_327:                             ;   in Loop: Header=BB10_289 Depth=1
	s_or_saveexec_b32 s0, s6
	v_mov_b32_e32 v9, s1
	s_xor_b32 exec_lo, exec_lo, s0
	s_cbranch_execz .LBB10_329
; %bb.328:                              ;   in Loop: Header=BB10_289 Depth=1
	flat_load_b64 v[19:20], v[25:26]
	v_add_co_u32 v25, vcc_lo, v25, 8
	v_add_co_ci_u32_e32 v26, vcc_lo, 0, v26, vcc_lo
	s_waitcnt vmcnt(0) lgkmcnt(0)
	v_and_b32_e32 v9, 0xff, v20
	v_and_b32_e32 v22, 0xff00, v20
	;; [unrolled: 1-line block ×4, first 2 shown]
	v_or3_b32 v19, v19, 0, 0
	s_delay_alu instid0(VALU_DEP_4) | instskip(SKIP_1) | instid1(VALU_DEP_2)
	v_or_b32_e32 v22, v9, v22
	v_add_nc_u32_e32 v9, -8, v21
	v_or3_b32 v20, v22, v23, v20
.LBB10_329:                             ;   in Loop: Header=BB10_289 Depth=1
	s_or_b32 exec_lo, exec_lo, s0
                                        ; implicit-def: $vgpr21_vgpr22
                                        ; implicit-def: $sgpr1
	s_delay_alu instid0(SALU_CYCLE_1) | instskip(NEXT) | instid1(VALU_DEP_1)
	s_mov_b32 s0, exec_lo
	v_cmpx_gt_u32_e32 8, v9
	s_xor_b32 s6, exec_lo, s0
	s_cbranch_execz .LBB10_335
; %bb.330:                              ;   in Loop: Header=BB10_289 Depth=1
	v_mov_b32_e32 v21, 0
	v_mov_b32_e32 v22, 0
	s_mov_b32 s7, exec_lo
	v_cmpx_ne_u32_e32 0, v9
	s_cbranch_execz .LBB10_334
; %bb.331:                              ;   in Loop: Header=BB10_289 Depth=1
	v_mov_b32_e32 v21, 0
	v_mov_b32_e32 v22, 0
	s_mov_b64 s[0:1], 0
	s_mov_b32 s13, 0
	s_mov_b64 s[4:5], 0
	.p2align	6
.LBB10_332:                             ;   Parent Loop BB10_289 Depth=1
                                        ; =>  This Inner Loop Header: Depth=2
	s_delay_alu instid0(SALU_CYCLE_1)
	v_add_co_u32 v23, vcc_lo, v25, s4
	v_add_co_ci_u32_e32 v24, vcc_lo, s5, v26, vcc_lo
	s_add_u32 s4, s4, 1
	s_addc_u32 s5, s5, 0
	v_cmp_eq_u32_e32 vcc_lo, s4, v9
	flat_load_u8 v23, v[23:24]
	s_waitcnt vmcnt(0) lgkmcnt(0)
	v_dual_mov_b32 v24, s12 :: v_dual_and_b32 v23, 0xffff, v23
	s_delay_alu instid0(VALU_DEP_1) | instskip(SKIP_3) | instid1(VALU_DEP_1)
	v_lshlrev_b64 v[23:24], s0, v[23:24]
	s_add_u32 s0, s0, 8
	s_addc_u32 s1, s1, 0
	s_or_b32 s13, vcc_lo, s13
	v_or_b32_e32 v22, v24, v22
	s_delay_alu instid0(VALU_DEP_2)
	v_or_b32_e32 v21, v23, v21
	s_and_not1_b32 exec_lo, exec_lo, s13
	s_cbranch_execnz .LBB10_332
; %bb.333:                              ;   in Loop: Header=BB10_289 Depth=1
	s_or_b32 exec_lo, exec_lo, s13
.LBB10_334:                             ;   in Loop: Header=BB10_289 Depth=1
	s_delay_alu instid0(SALU_CYCLE_1)
	s_or_b32 exec_lo, exec_lo, s7
	s_mov_b32 s1, 0
                                        ; implicit-def: $vgpr9
.LBB10_335:                             ;   in Loop: Header=BB10_289 Depth=1
	s_or_saveexec_b32 s0, s6
	v_mov_b32_e32 v27, s1
	s_xor_b32 exec_lo, exec_lo, s0
	s_cbranch_execz .LBB10_337
; %bb.336:                              ;   in Loop: Header=BB10_289 Depth=1
	flat_load_b64 v[21:22], v[25:26]
	v_add_co_u32 v25, vcc_lo, v25, 8
	v_add_nc_u32_e32 v27, -8, v9
	v_add_co_ci_u32_e32 v26, vcc_lo, 0, v26, vcc_lo
	s_waitcnt vmcnt(0) lgkmcnt(0)
	v_and_b32_e32 v23, 0xff, v22
	v_and_b32_e32 v24, 0xff00, v22
	;; [unrolled: 1-line block ×4, first 2 shown]
	v_or3_b32 v21, v21, 0, 0
	s_delay_alu instid0(VALU_DEP_4) | instskip(NEXT) | instid1(VALU_DEP_1)
	v_or_b32_e32 v23, v23, v24
	v_or3_b32 v22, v23, v28, v22
.LBB10_337:                             ;   in Loop: Header=BB10_289 Depth=1
	s_or_b32 exec_lo, exec_lo, s0
	s_delay_alu instid0(SALU_CYCLE_1)
	s_mov_b32 s0, exec_lo
	v_cmpx_gt_u32_e32 8, v27
	s_xor_b32 s4, exec_lo, s0
	s_cbranch_execz .LBB10_343
; %bb.338:                              ;   in Loop: Header=BB10_289 Depth=1
	v_mov_b32_e32 v23, 0
	v_mov_b32_e32 v24, 0
	s_mov_b32 s5, exec_lo
	v_cmpx_ne_u32_e32 0, v27
	s_cbranch_execz .LBB10_342
; %bb.339:                              ;   in Loop: Header=BB10_289 Depth=1
	v_mov_b32_e32 v23, 0
	v_mov_b32_e32 v24, 0
	s_mov_b64 s[0:1], 0
	s_mov_b32 s6, 0
	.p2align	6
.LBB10_340:                             ;   Parent Loop BB10_289 Depth=1
                                        ; =>  This Inner Loop Header: Depth=2
	flat_load_u8 v9, v[25:26]
	v_dual_mov_b32 v34, s12 :: v_dual_add_nc_u32 v27, -1, v27
	v_add_co_u32 v25, vcc_lo, v25, 1
	v_add_co_ci_u32_e32 v26, vcc_lo, 0, v26, vcc_lo
	s_delay_alu instid0(VALU_DEP_3) | instskip(SKIP_2) | instid1(VALU_DEP_1)
	v_cmp_eq_u32_e32 vcc_lo, 0, v27
	s_waitcnt vmcnt(0) lgkmcnt(0)
	v_and_b32_e32 v33, 0xffff, v9
	v_lshlrev_b64 v[33:34], s0, v[33:34]
	s_add_u32 s0, s0, 8
	s_addc_u32 s1, s1, 0
	s_or_b32 s6, vcc_lo, s6
	s_delay_alu instid0(VALU_DEP_1) | instskip(NEXT) | instid1(VALU_DEP_2)
	v_or_b32_e32 v24, v34, v24
	v_or_b32_e32 v23, v33, v23
	s_and_not1_b32 exec_lo, exec_lo, s6
	s_cbranch_execnz .LBB10_340
; %bb.341:                              ;   in Loop: Header=BB10_289 Depth=1
	s_or_b32 exec_lo, exec_lo, s6
.LBB10_342:                             ;   in Loop: Header=BB10_289 Depth=1
	s_delay_alu instid0(SALU_CYCLE_1)
	s_or_b32 exec_lo, exec_lo, s5
                                        ; implicit-def: $vgpr25_vgpr26
.LBB10_343:                             ;   in Loop: Header=BB10_289 Depth=1
	s_and_not1_saveexec_b32 s0, s4
	s_cbranch_execz .LBB10_345
; %bb.344:                              ;   in Loop: Header=BB10_289 Depth=1
	flat_load_b64 v[23:24], v[25:26]
	s_waitcnt vmcnt(0) lgkmcnt(0)
	v_and_b32_e32 v9, 0xff, v24
	v_and_b32_e32 v25, 0xff00, v24
	;; [unrolled: 1-line block ×4, first 2 shown]
	v_or3_b32 v23, v23, 0, 0
	s_delay_alu instid0(VALU_DEP_4) | instskip(NEXT) | instid1(VALU_DEP_1)
	v_or_b32_e32 v9, v9, v25
	v_or3_b32 v24, v9, v26, v24
.LBB10_345:                             ;   in Loop: Header=BB10_289 Depth=1
	s_or_b32 exec_lo, exec_lo, s0
	v_readfirstlane_b32 s0, v49
	v_mov_b32_e32 v33, 0
	v_mov_b32_e32 v34, 0
	s_delay_alu instid0(VALU_DEP_3) | instskip(NEXT) | instid1(VALU_DEP_1)
	v_cmp_eq_u32_e64 s0, s0, v49
	s_and_saveexec_b32 s1, s0
	s_cbranch_execz .LBB10_351
; %bb.346:                              ;   in Loop: Header=BB10_289 Depth=1
	global_load_b64 v[27:28], v10, s[2:3] offset:24 glc
	s_waitcnt vmcnt(0)
	buffer_gl1_inv
	buffer_gl0_inv
	s_clause 0x1
	global_load_b64 v[25:26], v10, s[2:3] offset:40
	global_load_b64 v[33:34], v10, s[2:3]
	s_mov_b32 s4, exec_lo
	s_waitcnt vmcnt(1)
	v_and_b32_e32 v9, v26, v28
	v_and_b32_e32 v25, v25, v27
	s_delay_alu instid0(VALU_DEP_2) | instskip(NEXT) | instid1(VALU_DEP_2)
	v_mul_lo_u32 v9, v9, 24
	v_mul_hi_u32 v26, v25, 24
	v_mul_lo_u32 v25, v25, 24
	s_delay_alu instid0(VALU_DEP_2) | instskip(SKIP_1) | instid1(VALU_DEP_2)
	v_add_nc_u32_e32 v9, v26, v9
	s_waitcnt vmcnt(0)
	v_add_co_u32 v25, vcc_lo, v33, v25
	s_delay_alu instid0(VALU_DEP_2)
	v_add_co_ci_u32_e32 v26, vcc_lo, v34, v9, vcc_lo
	global_load_b64 v[25:26], v[25:26], off glc
	s_waitcnt vmcnt(0)
	global_atomic_cmpswap_b64 v[33:34], v10, v[25:28], s[2:3] offset:24 glc
	s_waitcnt vmcnt(0)
	buffer_gl1_inv
	buffer_gl0_inv
	v_cmpx_ne_u64_e64 v[33:34], v[27:28]
	s_cbranch_execz .LBB10_350
; %bb.347:                              ;   in Loop: Header=BB10_289 Depth=1
	s_mov_b32 s5, 0
	.p2align	6
.LBB10_348:                             ;   Parent Loop BB10_289 Depth=1
                                        ; =>  This Inner Loop Header: Depth=2
	s_sleep 1
	s_clause 0x1
	global_load_b64 v[25:26], v10, s[2:3] offset:40
	global_load_b64 v[35:36], v10, s[2:3]
	v_dual_mov_b32 v27, v33 :: v_dual_mov_b32 v28, v34
	s_waitcnt vmcnt(1)
	s_delay_alu instid0(VALU_DEP_1) | instskip(SKIP_1) | instid1(VALU_DEP_1)
	v_and_b32_e32 v9, v25, v27
	s_waitcnt vmcnt(0)
	v_mad_u64_u32 v[33:34], null, v9, 24, v[35:36]
	v_and_b32_e32 v35, v26, v28
	s_delay_alu instid0(VALU_DEP_2) | instskip(NEXT) | instid1(VALU_DEP_1)
	v_mov_b32_e32 v9, v34
	v_mad_u64_u32 v[25:26], null, v35, 24, v[9:10]
	s_delay_alu instid0(VALU_DEP_1)
	v_mov_b32_e32 v34, v25
	global_load_b64 v[25:26], v[33:34], off glc
	s_waitcnt vmcnt(0)
	global_atomic_cmpswap_b64 v[33:34], v10, v[25:28], s[2:3] offset:24 glc
	s_waitcnt vmcnt(0)
	buffer_gl1_inv
	buffer_gl0_inv
	v_cmp_eq_u64_e32 vcc_lo, v[33:34], v[27:28]
	s_or_b32 s5, vcc_lo, s5
	s_delay_alu instid0(SALU_CYCLE_1)
	s_and_not1_b32 exec_lo, exec_lo, s5
	s_cbranch_execnz .LBB10_348
; %bb.349:                              ;   in Loop: Header=BB10_289 Depth=1
	s_or_b32 exec_lo, exec_lo, s5
.LBB10_350:                             ;   in Loop: Header=BB10_289 Depth=1
	s_delay_alu instid0(SALU_CYCLE_1)
	s_or_b32 exec_lo, exec_lo, s4
.LBB10_351:                             ;   in Loop: Header=BB10_289 Depth=1
	s_delay_alu instid0(SALU_CYCLE_1)
	s_or_b32 exec_lo, exec_lo, s1
	s_clause 0x1
	global_load_b64 v[35:36], v10, s[2:3] offset:40
	global_load_b128 v[25:28], v10, s[2:3]
	v_readfirstlane_b32 s4, v33
	v_readfirstlane_b32 s5, v34
	s_mov_b32 s1, exec_lo
	s_waitcnt vmcnt(1)
	v_readfirstlane_b32 s6, v35
	v_readfirstlane_b32 s7, v36
	s_delay_alu instid0(VALU_DEP_1) | instskip(NEXT) | instid1(SALU_CYCLE_1)
	s_and_b64 s[6:7], s[4:5], s[6:7]
	s_mul_i32 s13, s7, 24
	s_mul_hi_u32 s14, s6, 24
	s_mul_i32 s15, s6, 24
	s_add_i32 s14, s14, s13
	s_waitcnt vmcnt(0)
	v_add_co_u32 v33, vcc_lo, v25, s15
	v_add_co_ci_u32_e32 v34, vcc_lo, s14, v26, vcc_lo
	s_and_saveexec_b32 s13, s0
	s_cbranch_execz .LBB10_353
; %bb.352:                              ;   in Loop: Header=BB10_289 Depth=1
	v_mov_b32_e32 v9, s1
	global_store_b128 v[33:34], v[9:12], off offset:8
.LBB10_353:                             ;   in Loop: Header=BB10_289 Depth=1
	s_or_b32 exec_lo, exec_lo, s13
	v_cmp_lt_u64_e32 vcc_lo, 56, v[29:30]
	v_or_b32_e32 v9, 0, v1
	v_or_b32_e32 v35, v0, v4
	v_lshl_add_u32 v36, v31, 2, 28
	s_lshl_b64 s[6:7], s[6:7], 12
	s_delay_alu instid0(SALU_CYCLE_1) | instskip(NEXT) | instid1(VALU_DEP_1)
	v_add_co_u32 v27, s1, v27, s6
	v_add_co_ci_u32_e64 v28, s1, s7, v28, s1
	v_dual_cndmask_b32 v1, v9, v1 :: v_dual_cndmask_b32 v0, v35, v0
	v_and_b32_e32 v9, 0x1e0, v36
	s_delay_alu instid0(VALU_DEP_4) | instskip(NEXT) | instid1(VALU_DEP_4)
	v_readfirstlane_b32 s6, v27
	v_readfirstlane_b32 s7, v28
	s_delay_alu instid0(VALU_DEP_3)
	v_and_or_b32 v0, 0xffffff1f, v0, v9
	s_clause 0x3
	global_store_b128 v48, v[0:3], s[6:7]
	global_store_b128 v48, v[13:16], s[6:7] offset:16
	global_store_b128 v48, v[17:20], s[6:7] offset:32
	;; [unrolled: 1-line block ×3, first 2 shown]
	s_and_saveexec_b32 s1, s0
	s_cbranch_execz .LBB10_361
; %bb.354:                              ;   in Loop: Header=BB10_289 Depth=1
	s_clause 0x1
	global_load_b64 v[17:18], v10, s[2:3] offset:32 glc
	global_load_b64 v[0:1], v10, s[2:3] offset:40
	v_dual_mov_b32 v15, s4 :: v_dual_mov_b32 v16, s5
	s_waitcnt vmcnt(0)
	v_readfirstlane_b32 s6, v0
	v_readfirstlane_b32 s7, v1
	s_delay_alu instid0(VALU_DEP_1) | instskip(NEXT) | instid1(SALU_CYCLE_1)
	s_and_b64 s[6:7], s[6:7], s[4:5]
	s_mul_i32 s7, s7, 24
	s_mul_hi_u32 s13, s6, 24
	s_mul_i32 s6, s6, 24
	s_add_i32 s13, s13, s7
	v_add_co_u32 v13, vcc_lo, v25, s6
	v_add_co_ci_u32_e32 v14, vcc_lo, s13, v26, vcc_lo
	s_mov_b32 s6, exec_lo
	global_store_b64 v[13:14], v[17:18], off
	s_waitcnt_vscnt null, 0x0
	global_atomic_cmpswap_b64 v[2:3], v10, v[15:18], s[2:3] offset:32 glc
	s_waitcnt vmcnt(0)
	v_cmpx_ne_u64_e64 v[2:3], v[17:18]
	s_cbranch_execz .LBB10_357
; %bb.355:                              ;   in Loop: Header=BB10_289 Depth=1
	s_mov_b32 s7, 0
.LBB10_356:                             ;   Parent Loop BB10_289 Depth=1
                                        ; =>  This Inner Loop Header: Depth=2
	v_dual_mov_b32 v0, s4 :: v_dual_mov_b32 v1, s5
	s_sleep 1
	global_store_b64 v[13:14], v[2:3], off
	s_waitcnt_vscnt null, 0x0
	global_atomic_cmpswap_b64 v[0:1], v10, v[0:3], s[2:3] offset:32 glc
	s_waitcnt vmcnt(0)
	v_cmp_eq_u64_e32 vcc_lo, v[0:1], v[2:3]
	v_dual_mov_b32 v3, v1 :: v_dual_mov_b32 v2, v0
	s_or_b32 s7, vcc_lo, s7
	s_delay_alu instid0(SALU_CYCLE_1)
	s_and_not1_b32 exec_lo, exec_lo, s7
	s_cbranch_execnz .LBB10_356
.LBB10_357:                             ;   in Loop: Header=BB10_289 Depth=1
	s_or_b32 exec_lo, exec_lo, s6
	global_load_b64 v[0:1], v10, s[2:3] offset:16
	s_mov_b32 s7, exec_lo
	s_mov_b32 s6, exec_lo
	v_mbcnt_lo_u32_b32 v2, s7, 0
	s_delay_alu instid0(VALU_DEP_1)
	v_cmpx_eq_u32_e32 0, v2
	s_cbranch_execz .LBB10_359
; %bb.358:                              ;   in Loop: Header=BB10_289 Depth=1
	s_bcnt1_i32_b32 s7, s7
	s_delay_alu instid0(SALU_CYCLE_1)
	v_mov_b32_e32 v9, s7
	s_waitcnt vmcnt(0)
	global_atomic_add_u64 v[0:1], v[9:10], off offset:8
.LBB10_359:                             ;   in Loop: Header=BB10_289 Depth=1
	s_or_b32 exec_lo, exec_lo, s6
	s_waitcnt vmcnt(0)
	global_load_b64 v[2:3], v[0:1], off offset:16
	s_waitcnt vmcnt(0)
	v_cmp_eq_u64_e32 vcc_lo, 0, v[2:3]
	s_cbranch_vccnz .LBB10_361
; %bb.360:                              ;   in Loop: Header=BB10_289 Depth=1
	global_load_b32 v9, v[0:1], off offset:24
	s_waitcnt vmcnt(0)
	v_and_b32_e32 v0, 0xffffff, v9
	s_waitcnt_vscnt null, 0x0
	global_store_b64 v[2:3], v[9:10], off
	v_readfirstlane_b32 m0, v0
	s_sendmsg sendmsg(MSG_INTERRUPT)
.LBB10_361:                             ;   in Loop: Header=BB10_289 Depth=1
	s_or_b32 exec_lo, exec_lo, s1
	v_add_co_u32 v0, vcc_lo, v27, v48
	v_add_co_ci_u32_e32 v1, vcc_lo, 0, v28, vcc_lo
	s_branch .LBB10_365
	.p2align	6
.LBB10_362:                             ;   in Loop: Header=BB10_365 Depth=2
	s_or_b32 exec_lo, exec_lo, s1
	s_delay_alu instid0(VALU_DEP_1) | instskip(NEXT) | instid1(VALU_DEP_1)
	v_readfirstlane_b32 s1, v2
	s_cmp_eq_u32 s1, 0
	s_cbranch_scc1 .LBB10_364
; %bb.363:                              ;   in Loop: Header=BB10_365 Depth=2
	s_sleep 1
	s_cbranch_execnz .LBB10_365
	s_branch .LBB10_367
	.p2align	6
.LBB10_364:                             ;   in Loop: Header=BB10_289 Depth=1
	s_branch .LBB10_367
.LBB10_365:                             ;   Parent Loop BB10_289 Depth=1
                                        ; =>  This Inner Loop Header: Depth=2
	v_mov_b32_e32 v2, 1
	s_and_saveexec_b32 s1, s0
	s_cbranch_execz .LBB10_362
; %bb.366:                              ;   in Loop: Header=BB10_365 Depth=2
	global_load_b32 v2, v[33:34], off offset:20 glc
	s_waitcnt vmcnt(0)
	buffer_gl1_inv
	buffer_gl0_inv
	v_and_b32_e32 v2, 1, v2
	s_branch .LBB10_362
.LBB10_367:                             ;   in Loop: Header=BB10_289 Depth=1
	global_load_b128 v[0:3], v[0:1], off
	s_and_saveexec_b32 s1, s0
	s_cbranch_execz .LBB10_288
; %bb.368:                              ;   in Loop: Header=BB10_289 Depth=1
	s_clause 0x2
	global_load_b64 v[2:3], v10, s[2:3] offset:40
	global_load_b64 v[17:18], v10, s[2:3] offset:24 glc
	global_load_b64 v[15:16], v10, s[2:3]
	s_waitcnt vmcnt(2)
	v_add_co_u32 v9, vcc_lo, v2, 1
	v_add_co_ci_u32_e32 v19, vcc_lo, 0, v3, vcc_lo
	s_delay_alu instid0(VALU_DEP_2) | instskip(NEXT) | instid1(VALU_DEP_2)
	v_add_co_u32 v13, vcc_lo, v9, s4
	v_add_co_ci_u32_e32 v14, vcc_lo, s5, v19, vcc_lo
	s_delay_alu instid0(VALU_DEP_1) | instskip(SKIP_1) | instid1(VALU_DEP_1)
	v_cmp_eq_u64_e32 vcc_lo, 0, v[13:14]
	v_dual_cndmask_b32 v14, v14, v19 :: v_dual_cndmask_b32 v13, v13, v9
	v_and_b32_e32 v3, v14, v3
	s_delay_alu instid0(VALU_DEP_2) | instskip(NEXT) | instid1(VALU_DEP_2)
	v_and_b32_e32 v2, v13, v2
	v_mul_lo_u32 v3, v3, 24
	s_delay_alu instid0(VALU_DEP_2) | instskip(SKIP_1) | instid1(VALU_DEP_2)
	v_mul_hi_u32 v9, v2, 24
	v_mul_lo_u32 v2, v2, 24
	v_add_nc_u32_e32 v3, v9, v3
	s_waitcnt vmcnt(0)
	s_delay_alu instid0(VALU_DEP_2) | instskip(SKIP_1) | instid1(VALU_DEP_3)
	v_add_co_u32 v2, vcc_lo, v15, v2
	v_mov_b32_e32 v15, v17
	v_add_co_ci_u32_e32 v3, vcc_lo, v16, v3, vcc_lo
	v_mov_b32_e32 v16, v18
	global_store_b64 v[2:3], v[17:18], off
	s_waitcnt_vscnt null, 0x0
	global_atomic_cmpswap_b64 v[15:16], v10, v[13:16], s[2:3] offset:24 glc
	s_waitcnt vmcnt(0)
	v_cmp_ne_u64_e32 vcc_lo, v[15:16], v[17:18]
	s_and_b32 exec_lo, exec_lo, vcc_lo
	s_cbranch_execz .LBB10_288
; %bb.369:                              ;   in Loop: Header=BB10_289 Depth=1
	s_mov_b32 s0, 0
.LBB10_370:                             ;   Parent Loop BB10_289 Depth=1
                                        ; =>  This Inner Loop Header: Depth=2
	s_sleep 1
	global_store_b64 v[2:3], v[15:16], off
	s_waitcnt_vscnt null, 0x0
	global_atomic_cmpswap_b64 v[17:18], v10, v[13:16], s[2:3] offset:24 glc
	s_waitcnt vmcnt(0)
	v_cmp_eq_u64_e32 vcc_lo, v[17:18], v[15:16]
	v_dual_mov_b32 v15, v17 :: v_dual_mov_b32 v16, v18
	s_or_b32 s0, vcc_lo, s0
	s_delay_alu instid0(SALU_CYCLE_1)
	s_and_not1_b32 exec_lo, exec_lo, s0
	s_cbranch_execnz .LBB10_370
	s_branch .LBB10_288
.LBB10_371:
	s_or_b32 exec_lo, exec_lo, s11
                                        ; implicit-def: $vgpr48
                                        ; implicit-def: $vgpr49
.LBB10_372:
	s_and_not1_saveexec_b32 s1, s10
	s_cbranch_execz .LBB10_400
; %bb.373:
	v_readfirstlane_b32 s0, v49
	s_waitcnt vmcnt(0)
	v_mov_b32_e32 v3, 0
	v_mov_b32_e32 v4, 0
	s_delay_alu instid0(VALU_DEP_3) | instskip(NEXT) | instid1(VALU_DEP_1)
	v_cmp_eq_u32_e64 s0, s0, v49
	s_and_saveexec_b32 s4, s0
	s_cbranch_execz .LBB10_379
; %bb.374:
	v_mov_b32_e32 v2, 0
	s_mov_b32 s5, exec_lo
	global_load_b64 v[5:6], v2, s[2:3] offset:24 glc
	s_waitcnt vmcnt(0)
	buffer_gl1_inv
	buffer_gl0_inv
	s_clause 0x1
	global_load_b64 v[3:4], v2, s[2:3] offset:40
	global_load_b64 v[9:10], v2, s[2:3]
	s_waitcnt vmcnt(1)
	v_and_b32_e32 v3, v3, v5
	v_and_b32_e32 v4, v4, v6
	s_delay_alu instid0(VALU_DEP_2) | instskip(NEXT) | instid1(VALU_DEP_2)
	v_mul_hi_u32 v11, v3, 24
	v_mul_lo_u32 v4, v4, 24
	v_mul_lo_u32 v3, v3, 24
	s_delay_alu instid0(VALU_DEP_2) | instskip(SKIP_1) | instid1(VALU_DEP_2)
	v_add_nc_u32_e32 v4, v11, v4
	s_waitcnt vmcnt(0)
	v_add_co_u32 v3, vcc_lo, v9, v3
	s_delay_alu instid0(VALU_DEP_2)
	v_add_co_ci_u32_e32 v4, vcc_lo, v10, v4, vcc_lo
	global_load_b64 v[3:4], v[3:4], off glc
	s_waitcnt vmcnt(0)
	global_atomic_cmpswap_b64 v[3:4], v2, v[3:6], s[2:3] offset:24 glc
	s_waitcnt vmcnt(0)
	buffer_gl1_inv
	buffer_gl0_inv
	v_cmpx_ne_u64_e64 v[3:4], v[5:6]
	s_cbranch_execz .LBB10_378
; %bb.375:
	s_mov_b32 s6, 0
	.p2align	6
.LBB10_376:                             ; =>This Inner Loop Header: Depth=1
	s_sleep 1
	s_clause 0x1
	global_load_b64 v[9:10], v2, s[2:3] offset:40
	global_load_b64 v[11:12], v2, s[2:3]
	v_dual_mov_b32 v6, v4 :: v_dual_mov_b32 v5, v3
	s_waitcnt vmcnt(1)
	s_delay_alu instid0(VALU_DEP_1) | instskip(SKIP_1) | instid1(VALU_DEP_1)
	v_and_b32_e32 v9, v9, v5
	s_waitcnt vmcnt(0)
	v_mad_u64_u32 v[3:4], null, v9, 24, v[11:12]
	v_and_b32_e32 v11, v10, v6
	s_delay_alu instid0(VALU_DEP_1) | instskip(NEXT) | instid1(VALU_DEP_1)
	v_mad_u64_u32 v[9:10], null, v11, 24, v[4:5]
	v_mov_b32_e32 v4, v9
	global_load_b64 v[3:4], v[3:4], off glc
	s_waitcnt vmcnt(0)
	global_atomic_cmpswap_b64 v[3:4], v2, v[3:6], s[2:3] offset:24 glc
	s_waitcnt vmcnt(0)
	buffer_gl1_inv
	buffer_gl0_inv
	v_cmp_eq_u64_e32 vcc_lo, v[3:4], v[5:6]
	s_or_b32 s6, vcc_lo, s6
	s_delay_alu instid0(SALU_CYCLE_1)
	s_and_not1_b32 exec_lo, exec_lo, s6
	s_cbranch_execnz .LBB10_376
; %bb.377:
	s_or_b32 exec_lo, exec_lo, s6
.LBB10_378:
	s_delay_alu instid0(SALU_CYCLE_1)
	s_or_b32 exec_lo, exec_lo, s5
.LBB10_379:
	s_delay_alu instid0(SALU_CYCLE_1)
	s_or_b32 exec_lo, exec_lo, s4
	v_mov_b32_e32 v2, 0
	v_readfirstlane_b32 s4, v3
	v_readfirstlane_b32 s5, v4
	s_mov_b32 s10, exec_lo
	s_clause 0x1
	global_load_b64 v[5:6], v2, s[2:3] offset:40
	global_load_b128 v[9:12], v2, s[2:3]
	s_waitcnt vmcnt(1)
	v_readfirstlane_b32 s6, v5
	v_readfirstlane_b32 s7, v6
	s_delay_alu instid0(VALU_DEP_1) | instskip(NEXT) | instid1(SALU_CYCLE_1)
	s_and_b64 s[6:7], s[4:5], s[6:7]
	s_mul_i32 s11, s7, 24
	s_mul_hi_u32 s12, s6, 24
	s_mul_i32 s13, s6, 24
	s_add_i32 s12, s12, s11
	s_waitcnt vmcnt(0)
	v_add_co_u32 v4, vcc_lo, v9, s13
	v_add_co_ci_u32_e32 v5, vcc_lo, s12, v10, vcc_lo
	s_and_saveexec_b32 s11, s0
	s_cbranch_execz .LBB10_381
; %bb.380:
	v_dual_mov_b32 v13, s10 :: v_dual_mov_b32 v14, v2
	v_dual_mov_b32 v15, 2 :: v_dual_mov_b32 v16, 1
	global_store_b128 v[4:5], v[13:16], off offset:8
.LBB10_381:
	s_or_b32 exec_lo, exec_lo, s11
	s_lshl_b64 s[6:7], s[6:7], 12
	s_mov_b32 s12, 0
	v_add_co_u32 v6, vcc_lo, v11, s6
	v_add_co_ci_u32_e32 v12, vcc_lo, s7, v12, vcc_lo
	s_mov_b32 s15, s12
	s_delay_alu instid0(VALU_DEP_2)
	v_add_co_u32 v11, vcc_lo, v6, v48
	s_mov_b32 s13, s12
	s_mov_b32 s14, s12
	v_and_or_b32 v0, 0xffffff1f, v0, 32
	v_dual_mov_b32 v3, v2 :: v_dual_mov_b32 v16, s15
	v_readfirstlane_b32 s6, v6
	v_readfirstlane_b32 s7, v12
	v_add_co_ci_u32_e32 v12, vcc_lo, 0, v12, vcc_lo
	v_dual_mov_b32 v15, s14 :: v_dual_mov_b32 v14, s13
	v_mov_b32_e32 v13, s12
	s_clause 0x3
	global_store_b128 v48, v[0:3], s[6:7]
	global_store_b128 v48, v[13:16], s[6:7] offset:16
	global_store_b128 v48, v[13:16], s[6:7] offset:32
	;; [unrolled: 1-line block ×3, first 2 shown]
	s_and_saveexec_b32 s6, s0
	s_cbranch_execz .LBB10_389
; %bb.382:
	v_dual_mov_b32 v6, 0 :: v_dual_mov_b32 v13, s4
	v_mov_b32_e32 v14, s5
	s_clause 0x1
	global_load_b64 v[15:16], v6, s[2:3] offset:32 glc
	global_load_b64 v[0:1], v6, s[2:3] offset:40
	s_waitcnt vmcnt(0)
	v_readfirstlane_b32 s10, v0
	v_readfirstlane_b32 s11, v1
	s_delay_alu instid0(VALU_DEP_1) | instskip(NEXT) | instid1(SALU_CYCLE_1)
	s_and_b64 s[10:11], s[10:11], s[4:5]
	s_mul_i32 s7, s11, 24
	s_mul_hi_u32 s11, s10, 24
	s_mul_i32 s10, s10, 24
	s_add_i32 s11, s11, s7
	v_add_co_u32 v9, vcc_lo, v9, s10
	v_add_co_ci_u32_e32 v10, vcc_lo, s11, v10, vcc_lo
	s_mov_b32 s7, exec_lo
	global_store_b64 v[9:10], v[15:16], off
	s_waitcnt_vscnt null, 0x0
	global_atomic_cmpswap_b64 v[2:3], v6, v[13:16], s[2:3] offset:32 glc
	s_waitcnt vmcnt(0)
	v_cmpx_ne_u64_e64 v[2:3], v[15:16]
	s_cbranch_execz .LBB10_385
; %bb.383:
	s_mov_b32 s10, 0
.LBB10_384:                             ; =>This Inner Loop Header: Depth=1
	v_dual_mov_b32 v0, s4 :: v_dual_mov_b32 v1, s5
	s_sleep 1
	global_store_b64 v[9:10], v[2:3], off
	s_waitcnt_vscnt null, 0x0
	global_atomic_cmpswap_b64 v[0:1], v6, v[0:3], s[2:3] offset:32 glc
	s_waitcnt vmcnt(0)
	v_cmp_eq_u64_e32 vcc_lo, v[0:1], v[2:3]
	v_dual_mov_b32 v3, v1 :: v_dual_mov_b32 v2, v0
	s_or_b32 s10, vcc_lo, s10
	s_delay_alu instid0(SALU_CYCLE_1)
	s_and_not1_b32 exec_lo, exec_lo, s10
	s_cbranch_execnz .LBB10_384
.LBB10_385:
	s_or_b32 exec_lo, exec_lo, s7
	v_mov_b32_e32 v3, 0
	s_mov_b32 s10, exec_lo
	s_mov_b32 s7, exec_lo
	v_mbcnt_lo_u32_b32 v2, s10, 0
	global_load_b64 v[0:1], v3, s[2:3] offset:16
	v_cmpx_eq_u32_e32 0, v2
	s_cbranch_execz .LBB10_387
; %bb.386:
	s_bcnt1_i32_b32 s10, s10
	s_delay_alu instid0(SALU_CYCLE_1)
	v_mov_b32_e32 v2, s10
	s_waitcnt vmcnt(0)
	global_atomic_add_u64 v[0:1], v[2:3], off offset:8
.LBB10_387:
	s_or_b32 exec_lo, exec_lo, s7
	s_waitcnt vmcnt(0)
	global_load_b64 v[2:3], v[0:1], off offset:16
	s_waitcnt vmcnt(0)
	v_cmp_eq_u64_e32 vcc_lo, 0, v[2:3]
	s_cbranch_vccnz .LBB10_389
; %bb.388:
	global_load_b32 v0, v[0:1], off offset:24
	s_waitcnt vmcnt(0)
	v_dual_mov_b32 v1, 0 :: v_dual_and_b32 v6, 0xffffff, v0
	s_waitcnt_vscnt null, 0x0
	global_store_b64 v[2:3], v[0:1], off
	v_readfirstlane_b32 m0, v6
	s_sendmsg sendmsg(MSG_INTERRUPT)
.LBB10_389:
	s_or_b32 exec_lo, exec_lo, s6
	s_branch .LBB10_393
	.p2align	6
.LBB10_390:                             ;   in Loop: Header=BB10_393 Depth=1
	s_or_b32 exec_lo, exec_lo, s6
	s_delay_alu instid0(VALU_DEP_1) | instskip(NEXT) | instid1(VALU_DEP_1)
	v_readfirstlane_b32 s6, v0
	s_cmp_eq_u32 s6, 0
	s_cbranch_scc1 .LBB10_392
; %bb.391:                              ;   in Loop: Header=BB10_393 Depth=1
	s_sleep 1
	s_cbranch_execnz .LBB10_393
	s_branch .LBB10_395
	.p2align	6
.LBB10_392:
	s_branch .LBB10_395
.LBB10_393:                             ; =>This Inner Loop Header: Depth=1
	v_mov_b32_e32 v0, 1
	s_and_saveexec_b32 s6, s0
	s_cbranch_execz .LBB10_390
; %bb.394:                              ;   in Loop: Header=BB10_393 Depth=1
	global_load_b32 v0, v[4:5], off offset:20 glc
	s_waitcnt vmcnt(0)
	buffer_gl1_inv
	buffer_gl0_inv
	v_and_b32_e32 v0, 1, v0
	s_branch .LBB10_390
.LBB10_395:
	global_load_b64 v[0:1], v[11:12], off
	s_and_saveexec_b32 s6, s0
	s_cbranch_execz .LBB10_399
; %bb.396:
	v_mov_b32_e32 v6, 0
	s_clause 0x2
	global_load_b64 v[4:5], v6, s[2:3] offset:40
	global_load_b64 v[11:12], v6, s[2:3] offset:24 glc
	global_load_b64 v[9:10], v6, s[2:3]
	s_waitcnt vmcnt(2)
	v_add_co_u32 v13, vcc_lo, v4, 1
	v_add_co_ci_u32_e32 v14, vcc_lo, 0, v5, vcc_lo
	s_delay_alu instid0(VALU_DEP_2) | instskip(NEXT) | instid1(VALU_DEP_2)
	v_add_co_u32 v2, vcc_lo, v13, s4
	v_add_co_ci_u32_e32 v3, vcc_lo, s5, v14, vcc_lo
	s_delay_alu instid0(VALU_DEP_1) | instskip(SKIP_1) | instid1(VALU_DEP_1)
	v_cmp_eq_u64_e32 vcc_lo, 0, v[2:3]
	v_dual_cndmask_b32 v3, v3, v14 :: v_dual_cndmask_b32 v2, v2, v13
	v_and_b32_e32 v5, v3, v5
	s_delay_alu instid0(VALU_DEP_2) | instskip(NEXT) | instid1(VALU_DEP_2)
	v_and_b32_e32 v4, v2, v4
	v_mul_lo_u32 v5, v5, 24
	s_delay_alu instid0(VALU_DEP_2) | instskip(SKIP_1) | instid1(VALU_DEP_2)
	v_mul_hi_u32 v13, v4, 24
	v_mul_lo_u32 v4, v4, 24
	v_add_nc_u32_e32 v5, v13, v5
	s_waitcnt vmcnt(0)
	s_delay_alu instid0(VALU_DEP_2) | instskip(SKIP_1) | instid1(VALU_DEP_3)
	v_add_co_u32 v9, vcc_lo, v9, v4
	v_mov_b32_e32 v4, v11
	v_add_co_ci_u32_e32 v10, vcc_lo, v10, v5, vcc_lo
	v_mov_b32_e32 v5, v12
	global_store_b64 v[9:10], v[11:12], off
	s_waitcnt_vscnt null, 0x0
	global_atomic_cmpswap_b64 v[4:5], v6, v[2:5], s[2:3] offset:24 glc
	s_waitcnt vmcnt(0)
	v_cmp_ne_u64_e32 vcc_lo, v[4:5], v[11:12]
	s_and_b32 exec_lo, exec_lo, vcc_lo
	s_cbranch_execz .LBB10_399
; %bb.397:
	s_mov_b32 s0, 0
.LBB10_398:                             ; =>This Inner Loop Header: Depth=1
	s_sleep 1
	global_store_b64 v[9:10], v[4:5], off
	s_waitcnt_vscnt null, 0x0
	global_atomic_cmpswap_b64 v[11:12], v6, v[2:5], s[2:3] offset:24 glc
	s_waitcnt vmcnt(0)
	v_cmp_eq_u64_e32 vcc_lo, v[11:12], v[4:5]
	v_dual_mov_b32 v4, v11 :: v_dual_mov_b32 v5, v12
	s_or_b32 s0, vcc_lo, s0
	s_delay_alu instid0(SALU_CYCLE_1)
	s_and_not1_b32 exec_lo, exec_lo, s0
	s_cbranch_execnz .LBB10_398
.LBB10_399:
	s_or_b32 exec_lo, exec_lo, s6
.LBB10_400:
	s_delay_alu instid0(SALU_CYCLE_1)
	s_or_b32 exec_lo, exec_lo, s1
	s_waitcnt vmcnt(0)
	v_dual_mov_b32 v2, v7 :: v_dual_mov_b32 v3, v8
	s_mov_b32 s0, 0
.LBB10_401:                             ; =>This Inner Loop Header: Depth=1
	flat_load_u8 v6, v[2:3]
	v_add_co_u32 v4, vcc_lo, v2, 1
	v_add_co_ci_u32_e32 v5, vcc_lo, 0, v3, vcc_lo
	s_delay_alu instid0(VALU_DEP_1) | instskip(SKIP_3) | instid1(SALU_CYCLE_1)
	v_dual_mov_b32 v2, v4 :: v_dual_mov_b32 v3, v5
	s_waitcnt vmcnt(0) lgkmcnt(0)
	v_cmp_eq_u16_e32 vcc_lo, 0, v6
	s_or_b32 s0, vcc_lo, s0
	s_and_not1_b32 exec_lo, exec_lo, s0
	s_cbranch_execnz .LBB10_401
; %bb.402:
	s_or_b32 exec_lo, exec_lo, s0
	v_sub_nc_u32_e32 v4, v4, v7
	v_dual_mov_b32 v2, v7 :: v_dual_mov_b32 v3, v8
	v_mov_b32_e32 v6, 1
	s_getpc_b64 s[0:1]
	s_add_u32 s0, s0, __ockl_fprintf_append_string_n@rel32@lo+4
	s_addc_u32 s1, s1, __ockl_fprintf_append_string_n@rel32@hi+12
	v_ashrrev_i32_e32 v5, 31, v4
	s_swappc_b64 s[30:31], s[0:1]
	s_trap 2
	s_sendmsg_rtn_b32 s0, sendmsg(MSG_RTN_GET_DOORBELL)
	s_mov_b32 ttmp2, m0
	s_waitcnt lgkmcnt(0)
	s_and_b32 s0, s0, 0x3ff
	s_delay_alu instid0(SALU_CYCLE_1) | instskip(NEXT) | instid1(SALU_CYCLE_1)
	s_bitset1_b32 s0, 10
	s_mov_b32 m0, s0
	s_sendmsg sendmsg(MSG_INTERRUPT)
	s_mov_b32 m0, ttmp2
.LBB10_403:                             ; =>This Inner Loop Header: Depth=1
	s_sethalt 5
	s_branch .LBB10_403
.Lfunc_end10:
	.size	__assert_fail, .Lfunc_end10-__assert_fail
                                        ; -- End function
	.section	.AMDGPU.csdata,"",@progbits
; Function info:
; codeLenInByte = 17116
; NumSgprs: 36
; NumVgprs: 53
; ScratchSize: 64
; MemoryBound: 0
	.section	.text._ZN9rocsolver6v33100L15syevx_sort_eigsIffPfEEviPiPT0_lT1_iilS3_lS3_S3_,"axG",@progbits,_ZN9rocsolver6v33100L15syevx_sort_eigsIffPfEEviPiPT0_lT1_iilS3_lS3_S3_,comdat
	.globl	_ZN9rocsolver6v33100L15syevx_sort_eigsIffPfEEviPiPT0_lT1_iilS3_lS3_S3_ ; -- Begin function _ZN9rocsolver6v33100L15syevx_sort_eigsIffPfEEviPiPT0_lT1_iilS3_lS3_S3_
	.p2align	8
	.type	_ZN9rocsolver6v33100L15syevx_sort_eigsIffPfEEviPiPT0_lT1_iilS3_lS3_S3_,@function
_ZN9rocsolver6v33100L15syevx_sort_eigsIffPfEEviPiPT0_lT1_iilS3_lS3_S3_: ; @_ZN9rocsolver6v33100L15syevx_sort_eigsIffPfEEviPiPT0_lT1_iilS3_lS3_S3_
; %bb.0:
	s_load_b256 s[20:27], s[0:1], 0x8
	s_mov_b32 s28, s15
	s_mov_b32 s29, 0
	s_load_b256 s[36:43], s[0:1], 0x30
	s_lshl_b64 s[2:3], s[28:29], 2
	s_mov_b64 s[18:19], s[0:1]
	s_mov_b32 s32, 0
	s_waitcnt lgkmcnt(0)
	s_add_u32 s4, s20, s2
	s_addc_u32 s5, s21, s3
	s_load_b64 s[0:1], s[0:1], 0x50
	s_load_b32 s44, s[4:5], 0x0
	s_add_u32 s2, s42, s2
	s_addc_u32 s3, s43, s3
	s_cmp_eq_u64 s[38:39], 0
	s_mov_b64 s[20:21], 0
	s_cbranch_scc1 .LBB11_2
; %bb.1:
	s_mul_i32 s4, s28, s41
	s_mul_hi_u32 s5, s28, s40
	s_delay_alu instid0(SALU_CYCLE_1) | instskip(SKIP_1) | instid1(SALU_CYCLE_1)
	s_add_i32 s5, s5, s4
	s_mul_i32 s4, s28, s40
	s_lshl_b64 s[4:5], s[4:5], 2
	s_delay_alu instid0(SALU_CYCLE_1)
	s_add_u32 s20, s38, s4
	s_addc_u32 s21, s39, s5
.LBB11_2:
	s_load_b32 s43, s[18:19], 0x0
	s_mov_b32 s4, -1
	s_waitcnt lgkmcnt(0)
	s_cmp_le_i32 s44, s43
	s_cbranch_scc1 .LBB11_6
; %bb.3:
	s_and_b32 vcc_lo, exec_lo, s4
	s_cbranch_vccnz .LBB11_136
.LBB11_4:
	s_and_saveexec_b32 s0, s29
	s_cbranch_execnz .LBB11_137
.LBB11_5:
	s_endpgm
.LBB11_6:
	s_cmp_lg_u64 s[0:1], 0
	s_cbranch_scc0 .LBB11_21
; %bb.7:
	s_load_b64 s[6:7], s[18:19], 0x64
	s_load_b32 s45, s[2:3], 0x0
	s_mul_i32 s34, s28, s43
	s_mov_b32 s35, 0
	v_bfe_u32 v4, v0, 20, 10
	s_lshl_b64 s[4:5], s[34:35], 2
	v_bfe_u32 v3, v0, 10, 10
	v_and_b32_e32 v42, 0x3ff, v0
	s_waitcnt lgkmcnt(0)
	s_barrier
	buffer_gl0_inv
	s_and_b32 s7, s7, 0xffff
	s_lshr_b32 s3, s6, 16
	s_and_b32 s6, s6, 0xffff
	s_and_b32 s2, s7, 0xffff
	s_add_u32 s40, s0, s4
	s_addc_u32 s41, s1, s5
	s_cmp_gt_i32 s44, 0
	s_mul_i32 s3, s3, s6
	s_cselect_b32 s7, -1, 0
	s_cmp_lg_u64 s[22:23], 0
	v_mul_lo_u32 v41, s3, v4
	s_cselect_b32 s8, -1, 0
	v_mul_u32_u24_e32 v43, s6, v3
	s_and_b32 s7, s8, s7
	s_mul_i32 s42, s3, s2
	s_and_b32 vcc_lo, exec_lo, s7
	s_cbranch_vccz .LBB11_22
; %bb.8:
	s_delay_alu instid0(VALU_DEP_2)
	v_add3_u32 v0, v43, v42, v41
	s_mul_i32 s46, s3, s2
	s_mov_b32 s2, exec_lo
	s_barrier
	buffer_gl0_inv
	v_cmpx_gt_u32_e64 s44, v0
	s_cbranch_execz .LBB11_11
; %bb.9:
	v_dual_mov_b32 v2, 0 :: v_dual_mov_b32 v1, v0
	s_mov_b32 s3, 0
.LBB11_10:                              ; =>This Inner Loop Header: Depth=1
	s_delay_alu instid0(VALU_DEP_1) | instskip(NEXT) | instid1(VALU_DEP_1)
	v_lshlrev_b64 v[5:6], 2, v[1:2]
	v_add_co_u32 v5, vcc_lo, s40, v5
	s_delay_alu instid0(VALU_DEP_2) | instskip(SKIP_2) | instid1(VALU_DEP_1)
	v_add_co_ci_u32_e32 v6, vcc_lo, s41, v6, vcc_lo
	global_store_b32 v[5:6], v1, off
	v_add_nc_u32_e32 v1, s46, v1
	v_cmp_le_u32_e32 vcc_lo, s44, v1
	s_or_b32 s3, vcc_lo, s3
	s_delay_alu instid0(SALU_CYCLE_1)
	s_and_not1_b32 exec_lo, exec_lo, s3
	s_cbranch_execnz .LBB11_10
.LBB11_11:
	s_or_b32 exec_lo, exec_lo, s2
	s_mul_i32 s2, s28, s25
	s_mul_hi_u32 s3, s28, s24
	v_or3_b32 v1, v3, v4, v42
	s_add_i32 s3, s3, s2
	s_mul_i32 s2, s28, s24
	s_mov_b32 s29, exec_lo
	s_lshl_b64 s[6:7], s[2:3], 2
	s_waitcnt_vscnt null, 0x0
	s_add_u32 s2, s22, s6
	s_addc_u32 s3, s23, s7
	s_barrier
	buffer_gl0_inv
	v_cmpx_eq_u32_e32 0, v1
	s_cbranch_execz .LBB11_87
; %bb.12:
	s_cmpk_lt_i32 s44, 0x2be
	s_cbranch_scc1 .LBB11_24
; %bb.13:
	s_add_u32 s8, s0, s4
	v_mov_b32_e32 v1, 0
	s_addc_u32 s9, s1, s5
	s_add_u32 s8, s8, 0xaf4
	s_mov_b64 s[10:11], 0x2bd
	s_addc_u32 s9, s9, 0
	s_mov_b32 s13, 0
	s_mov_b64 s[14:15], s[2:3]
	s_branch .LBB11_15
.LBB11_14:                              ;   in Loop: Header=BB11_15 Depth=1
	s_lshl_b64 s[16:17], s[34:35], 2
	s_delay_alu instid0(SALU_CYCLE_1)
	s_add_u32 s24, s2, s16
	s_addc_u32 s25, s3, s17
	s_add_u32 s16, s40, s16
	s_addc_u32 s17, s41, s17
	;; [unrolled: 2-line block ×5, first 2 shown]
	s_cmp_ge_i32 s10, s44
	s_waitcnt vmcnt(1)
	global_store_b32 v1, v2, s[24:25]
	s_waitcnt vmcnt(0)
	global_store_b32 v1, v3, s[16:17]
	s_cbranch_scc1 .LBB11_24
.LBB11_15:                              ; =>This Loop Header: Depth=1
                                        ;     Child Loop BB11_17 Depth 2
	s_mov_b32 s12, s10
	s_mov_b64 s[30:31], s[8:9]
	s_lshl_b64 s[16:17], s[12:13], 2
	s_mov_b64 s[34:35], s[12:13]
	s_add_u32 s24, s2, s16
	s_addc_u32 s25, s3, s17
	s_add_u32 s16, s40, s16
	s_addc_u32 s17, s41, s17
	s_clause 0x1
	global_load_b32 v2, v1, s[24:25]
	global_load_b32 v3, v1, s[16:17]
	s_cmpk_lt_u32 s10, 0x2bd
	s_mov_b64 s[24:25], s[14:15]
	s_mov_b64 s[16:17], s[10:11]
	s_cbranch_scc0 .LBB11_17
	s_branch .LBB11_14
	.p2align	6
.LBB11_16:                              ;   in Loop: Header=BB11_17 Depth=2
	global_load_b32 v5, v1, s[30:31] offset:-2804
	s_add_u32 s34, s30, 0xfffff50c
	s_addc_u32 s35, s31, -1
	s_add_u32 s38, s16, 0xfffffd43
	s_addc_u32 s39, s17, -1
	global_store_b32 v1, v4, s[24:25] offset:2804
	s_add_u32 s24, s24, 0xfffff50c
	s_addc_u32 s25, s25, -1
	s_cmpk_lt_i32 s16, 0x57a
	s_mov_b32 s12, 0
	s_mov_b64 s[16:17], s[38:39]
	s_cselect_b32 s33, -1, 0
	s_waitcnt vmcnt(0)
	global_store_b32 v1, v5, s[30:31]
	s_mov_b64 s[30:31], s[34:35]
                                        ; implicit-def: $sgpr34_sgpr35
	s_and_not1_b32 vcc_lo, exec_lo, s33
	s_cbranch_vccz .LBB11_19
.LBB11_17:                              ;   Parent Loop BB11_15 Depth=1
                                        ; =>  This Inner Loop Header: Depth=2
	global_load_b32 v4, v1, s[24:25]
	s_mov_b32 s12, -1
	s_waitcnt vmcnt(0)
	v_cmp_ngt_f32_e32 vcc_lo, v4, v2
	s_cbranch_vccz .LBB11_16
; %bb.18:                               ;   in Loop: Header=BB11_15 Depth=1
	s_mov_b64 s[34:35], s[16:17]
                                        ; implicit-def: $sgpr30_sgpr31
                                        ; implicit-def: $sgpr24_sgpr25
                                        ; implicit-def: $sgpr38_sgpr39
.LBB11_19:                              ;   in Loop: Header=BB11_15 Depth=1
	s_and_not1_b32 vcc_lo, exec_lo, s12
	s_cbranch_vccz .LBB11_14
; %bb.20:                               ;   in Loop: Header=BB11_15 Depth=1
	s_bfe_i64 s[34:35], s[38:39], 0x200000
	s_branch .LBB11_14
.LBB11_21:
	s_cbranch_execnz .LBB11_134
	s_branch .LBB11_135
.LBB11_22:
                                        ; implicit-def: $vgpr0
                                        ; implicit-def: $sgpr46
	s_cbranch_execnz .LBB11_102
.LBB11_23:
	s_mov_b32 s42, s46
	s_and_saveexec_b32 s17, s35
	s_cbranch_execnz .LBB11_103
	s_branch .LBB11_133
.LBB11_24:
	s_cmpk_lt_i32 s44, 0x12e
	s_cbranch_scc1 .LBB11_33
; %bb.25:
	s_add_u32 s8, s0, s4
	v_mov_b32_e32 v1, 0
	s_addc_u32 s9, s1, s5
	s_add_u32 s8, s8, 0x4b4
	s_mov_b64 s[10:11], 0x12d
	s_addc_u32 s9, s9, 0
	s_mov_b32 s13, 0
	s_mov_b64 s[14:15], s[2:3]
	s_branch .LBB11_27
.LBB11_26:                              ;   in Loop: Header=BB11_27 Depth=1
	s_lshl_b64 s[16:17], s[34:35], 2
	s_delay_alu instid0(SALU_CYCLE_1)
	s_add_u32 s24, s2, s16
	s_addc_u32 s25, s3, s17
	s_add_u32 s16, s40, s16
	s_addc_u32 s17, s41, s17
	;; [unrolled: 2-line block ×5, first 2 shown]
	s_cmp_lt_i32 s10, s44
	s_waitcnt vmcnt(1)
	global_store_b32 v1, v2, s[24:25]
	s_waitcnt vmcnt(0)
	global_store_b32 v1, v3, s[16:17]
	s_cbranch_scc0 .LBB11_33
.LBB11_27:                              ; =>This Loop Header: Depth=1
                                        ;     Child Loop BB11_29 Depth 2
	s_mov_b32 s12, s10
	s_mov_b64 s[30:31], s[8:9]
	s_lshl_b64 s[16:17], s[12:13], 2
	s_mov_b64 s[34:35], s[12:13]
	s_add_u32 s24, s2, s16
	s_addc_u32 s25, s3, s17
	s_add_u32 s16, s40, s16
	s_addc_u32 s17, s41, s17
	s_clause 0x1
	global_load_b32 v2, v1, s[24:25]
	global_load_b32 v3, v1, s[16:17]
	s_cmpk_lt_u32 s10, 0x12d
	s_mov_b64 s[24:25], s[14:15]
	s_mov_b64 s[16:17], s[10:11]
	s_cbranch_scc0 .LBB11_29
	s_branch .LBB11_26
	.p2align	6
.LBB11_28:                              ;   in Loop: Header=BB11_29 Depth=2
	global_load_b32 v5, v1, s[30:31] offset:-1204
	s_add_u32 s34, s30, 0xfffffb4c
	s_addc_u32 s35, s31, -1
	s_add_u32 s38, s16, 0xfffffed3
	s_addc_u32 s39, s17, -1
	global_store_b32 v1, v4, s[24:25] offset:1204
	s_add_u32 s24, s24, 0xfffffb4c
	s_addc_u32 s25, s25, -1
	s_cmpk_lt_i32 s16, 0x25a
	s_mov_b32 s12, 0
	s_mov_b64 s[16:17], s[38:39]
	s_cselect_b32 s33, -1, 0
	s_waitcnt vmcnt(0)
	global_store_b32 v1, v5, s[30:31]
	s_mov_b64 s[30:31], s[34:35]
                                        ; implicit-def: $sgpr34_sgpr35
	s_and_not1_b32 vcc_lo, exec_lo, s33
	s_cbranch_vccz .LBB11_31
.LBB11_29:                              ;   Parent Loop BB11_27 Depth=1
                                        ; =>  This Inner Loop Header: Depth=2
	global_load_b32 v4, v1, s[24:25]
	s_mov_b32 s12, -1
	s_waitcnt vmcnt(0)
	v_cmp_ngt_f32_e32 vcc_lo, v4, v2
	s_cbranch_vccz .LBB11_28
; %bb.30:                               ;   in Loop: Header=BB11_27 Depth=1
	s_mov_b64 s[34:35], s[16:17]
                                        ; implicit-def: $sgpr30_sgpr31
                                        ; implicit-def: $sgpr24_sgpr25
                                        ; implicit-def: $sgpr38_sgpr39
.LBB11_31:                              ;   in Loop: Header=BB11_27 Depth=1
	s_and_not1_b32 vcc_lo, exec_lo, s12
	s_cbranch_vccz .LBB11_26
; %bb.32:                               ;   in Loop: Header=BB11_27 Depth=1
	s_bfe_i64 s[34:35], s[38:39], 0x200000
	s_branch .LBB11_26
.LBB11_33:
	s_cmpk_lt_i32 s44, 0x85
	s_cbranch_scc1 .LBB11_42
; %bb.34:
	s_add_u32 s8, s0, s4
	v_mov_b32_e32 v1, 0
	s_addc_u32 s9, s1, s5
	s_add_u32 s8, s8, 0x210
	s_mov_b64 s[10:11], 0x84
	s_addc_u32 s9, s9, 0
	s_mov_b32 s13, 0
	s_mov_b64 s[14:15], s[2:3]
	s_branch .LBB11_36
.LBB11_35:                              ;   in Loop: Header=BB11_36 Depth=1
	s_lshl_b64 s[16:17], s[34:35], 2
	s_delay_alu instid0(SALU_CYCLE_1)
	s_add_u32 s24, s2, s16
	s_addc_u32 s25, s3, s17
	s_add_u32 s16, s40, s16
	s_addc_u32 s17, s41, s17
	;; [unrolled: 2-line block ×5, first 2 shown]
	s_cmp_lt_i32 s10, s44
	s_waitcnt vmcnt(1)
	global_store_b32 v1, v2, s[24:25]
	s_waitcnt vmcnt(0)
	global_store_b32 v1, v3, s[16:17]
	s_cbranch_scc0 .LBB11_42
.LBB11_36:                              ; =>This Loop Header: Depth=1
                                        ;     Child Loop BB11_38 Depth 2
	s_mov_b32 s12, s10
	s_mov_b64 s[30:31], s[8:9]
	s_lshl_b64 s[16:17], s[12:13], 2
	s_mov_b64 s[34:35], s[12:13]
	s_add_u32 s24, s2, s16
	s_addc_u32 s25, s3, s17
	s_add_u32 s16, s40, s16
	s_addc_u32 s17, s41, s17
	s_clause 0x1
	global_load_b32 v2, v1, s[24:25]
	global_load_b32 v3, v1, s[16:17]
	s_cmpk_lt_u32 s10, 0x84
	s_mov_b64 s[24:25], s[14:15]
	s_mov_b64 s[16:17], s[10:11]
	s_cbranch_scc0 .LBB11_38
	s_branch .LBB11_35
	.p2align	6
.LBB11_37:                              ;   in Loop: Header=BB11_38 Depth=2
	global_load_b32 v5, v1, s[30:31] offset:-528
	s_add_u32 s34, s30, 0xfffffdf0
	s_addc_u32 s35, s31, -1
	s_add_u32 s38, s16, 0xffffff7c
	s_addc_u32 s39, s17, -1
	global_store_b32 v1, v4, s[24:25] offset:528
	s_add_u32 s24, s24, 0xfffffdf0
	s_addc_u32 s25, s25, -1
	s_cmpk_lt_i32 s16, 0x108
	s_mov_b32 s12, 0
	s_mov_b64 s[16:17], s[38:39]
	s_cselect_b32 s33, -1, 0
	s_waitcnt vmcnt(0)
	global_store_b32 v1, v5, s[30:31]
	s_mov_b64 s[30:31], s[34:35]
                                        ; implicit-def: $sgpr34_sgpr35
	s_and_not1_b32 vcc_lo, exec_lo, s33
	s_cbranch_vccz .LBB11_40
.LBB11_38:                              ;   Parent Loop BB11_36 Depth=1
                                        ; =>  This Inner Loop Header: Depth=2
	global_load_b32 v4, v1, s[24:25]
	s_mov_b32 s12, -1
	s_waitcnt vmcnt(0)
	v_cmp_ngt_f32_e32 vcc_lo, v4, v2
	s_cbranch_vccz .LBB11_37
; %bb.39:                               ;   in Loop: Header=BB11_36 Depth=1
	s_mov_b64 s[34:35], s[16:17]
                                        ; implicit-def: $sgpr30_sgpr31
                                        ; implicit-def: $sgpr24_sgpr25
                                        ; implicit-def: $sgpr38_sgpr39
.LBB11_40:                              ;   in Loop: Header=BB11_36 Depth=1
	s_and_not1_b32 vcc_lo, exec_lo, s12
	s_cbranch_vccz .LBB11_35
; %bb.41:                               ;   in Loop: Header=BB11_36 Depth=1
	s_bfe_i64 s[34:35], s[38:39], 0x200000
	s_branch .LBB11_35
.LBB11_42:
	s_cmp_lt_i32 s44, 58
	s_cbranch_scc1 .LBB11_51
; %bb.43:
	s_add_u32 s8, s0, s4
	v_mov_b32_e32 v1, 0
	s_addc_u32 s9, s1, s5
	s_add_u32 s8, s8, 0xe4
	s_addc_u32 s9, s9, 0
	s_mov_b64 s[10:11], 57
	s_mov_b32 s13, 0
	s_mov_b64 s[14:15], s[2:3]
	s_branch .LBB11_45
.LBB11_44:                              ;   in Loop: Header=BB11_45 Depth=1
	s_lshl_b64 s[16:17], s[34:35], 2
	s_delay_alu instid0(SALU_CYCLE_1)
	s_add_u32 s24, s2, s16
	s_addc_u32 s25, s3, s17
	s_add_u32 s16, s40, s16
	s_addc_u32 s17, s41, s17
	;; [unrolled: 2-line block ×5, first 2 shown]
	s_cmp_lt_i32 s10, s44
	s_waitcnt vmcnt(1)
	global_store_b32 v1, v2, s[24:25]
	s_waitcnt vmcnt(0)
	global_store_b32 v1, v3, s[16:17]
	s_cbranch_scc0 .LBB11_51
.LBB11_45:                              ; =>This Loop Header: Depth=1
                                        ;     Child Loop BB11_47 Depth 2
	s_mov_b32 s12, s10
	s_mov_b64 s[30:31], s[8:9]
	s_lshl_b64 s[16:17], s[12:13], 2
	s_mov_b64 s[34:35], s[12:13]
	s_add_u32 s24, s2, s16
	s_addc_u32 s25, s3, s17
	s_add_u32 s16, s40, s16
	s_addc_u32 s17, s41, s17
	s_clause 0x1
	global_load_b32 v2, v1, s[24:25]
	global_load_b32 v3, v1, s[16:17]
	s_cmp_lt_u32 s10, 57
	s_mov_b64 s[24:25], s[14:15]
	s_mov_b64 s[16:17], s[10:11]
	s_cbranch_scc0 .LBB11_47
	s_branch .LBB11_44
	.p2align	6
.LBB11_46:                              ;   in Loop: Header=BB11_47 Depth=2
	global_load_b32 v5, v1, s[30:31] offset:-228
	s_add_u32 s34, s30, 0xffffff1c
	s_addc_u32 s35, s31, -1
	s_add_u32 s38, s16, 0xffffffc7
	s_addc_u32 s39, s17, -1
	global_store_b32 v1, v4, s[24:25] offset:228
	s_add_u32 s24, s24, 0xffffff1c
	s_addc_u32 s25, s25, -1
	s_cmpk_lt_i32 s16, 0x72
	s_mov_b32 s12, 0
	s_mov_b64 s[16:17], s[38:39]
	s_cselect_b32 s33, -1, 0
	s_waitcnt vmcnt(0)
	global_store_b32 v1, v5, s[30:31]
	s_mov_b64 s[30:31], s[34:35]
                                        ; implicit-def: $sgpr34_sgpr35
	s_and_not1_b32 vcc_lo, exec_lo, s33
	s_cbranch_vccz .LBB11_49
.LBB11_47:                              ;   Parent Loop BB11_45 Depth=1
                                        ; =>  This Inner Loop Header: Depth=2
	global_load_b32 v4, v1, s[24:25]
	s_mov_b32 s12, -1
	s_waitcnt vmcnt(0)
	v_cmp_ngt_f32_e32 vcc_lo, v4, v2
	s_cbranch_vccz .LBB11_46
; %bb.48:                               ;   in Loop: Header=BB11_45 Depth=1
	s_mov_b64 s[34:35], s[16:17]
                                        ; implicit-def: $sgpr30_sgpr31
                                        ; implicit-def: $sgpr24_sgpr25
                                        ; implicit-def: $sgpr38_sgpr39
.LBB11_49:                              ;   in Loop: Header=BB11_45 Depth=1
	s_and_not1_b32 vcc_lo, exec_lo, s12
	s_cbranch_vccz .LBB11_44
; %bb.50:                               ;   in Loop: Header=BB11_45 Depth=1
	s_bfe_i64 s[34:35], s[38:39], 0x200000
	s_branch .LBB11_44
.LBB11_51:
	s_cmp_lt_i32 s44, 24
	s_cbranch_scc1 .LBB11_60
; %bb.52:
	s_add_u32 s8, s0, s4
	v_mov_b32_e32 v1, 0
	s_addc_u32 s9, s1, s5
	s_add_u32 s8, s8, 0x5c
	s_addc_u32 s9, s9, 0
	s_mov_b64 s[10:11], 23
	s_mov_b32 s13, 0
	s_mov_b64 s[14:15], s[2:3]
	s_branch .LBB11_54
.LBB11_53:                              ;   in Loop: Header=BB11_54 Depth=1
	s_lshl_b64 s[16:17], s[34:35], 2
	s_delay_alu instid0(SALU_CYCLE_1)
	s_add_u32 s24, s2, s16
	s_addc_u32 s25, s3, s17
	s_add_u32 s16, s40, s16
	s_addc_u32 s17, s41, s17
	s_add_u32 s10, s10, 1
	s_addc_u32 s11, s11, 0
	s_add_u32 s8, s8, 4
	s_addc_u32 s9, s9, 0
	s_add_u32 s14, s14, 4
	s_addc_u32 s15, s15, 0
	s_cmp_lt_i32 s10, s44
	s_waitcnt vmcnt(1)
	global_store_b32 v1, v2, s[24:25]
	s_waitcnt vmcnt(0)
	global_store_b32 v1, v3, s[16:17]
	s_cbranch_scc0 .LBB11_60
.LBB11_54:                              ; =>This Loop Header: Depth=1
                                        ;     Child Loop BB11_56 Depth 2
	s_mov_b32 s12, s10
	s_mov_b64 s[30:31], s[8:9]
	s_lshl_b64 s[16:17], s[12:13], 2
	s_mov_b64 s[34:35], s[12:13]
	s_add_u32 s24, s2, s16
	s_addc_u32 s25, s3, s17
	s_add_u32 s16, s40, s16
	s_addc_u32 s17, s41, s17
	s_clause 0x1
	global_load_b32 v2, v1, s[24:25]
	global_load_b32 v3, v1, s[16:17]
	s_cmp_lt_u32 s10, 23
	s_mov_b64 s[24:25], s[14:15]
	s_mov_b64 s[16:17], s[10:11]
	s_cbranch_scc0 .LBB11_56
	s_branch .LBB11_53
	.p2align	6
.LBB11_55:                              ;   in Loop: Header=BB11_56 Depth=2
	global_load_b32 v5, v1, s[30:31] offset:-92
	s_add_u32 s34, s30, 0xffffffa4
	s_addc_u32 s35, s31, -1
	s_add_u32 s38, s16, 0xffffffe9
	s_addc_u32 s39, s17, -1
	global_store_b32 v1, v4, s[24:25] offset:92
	s_add_u32 s24, s24, 0xffffffa4
	s_addc_u32 s25, s25, -1
	s_cmp_lt_i32 s16, 46
	s_mov_b32 s12, 0
	s_mov_b64 s[16:17], s[38:39]
	s_cselect_b32 s33, -1, 0
	s_waitcnt vmcnt(0)
	global_store_b32 v1, v5, s[30:31]
	s_mov_b64 s[30:31], s[34:35]
                                        ; implicit-def: $sgpr34_sgpr35
	s_and_not1_b32 vcc_lo, exec_lo, s33
	s_cbranch_vccz .LBB11_58
.LBB11_56:                              ;   Parent Loop BB11_54 Depth=1
                                        ; =>  This Inner Loop Header: Depth=2
	global_load_b32 v4, v1, s[24:25]
	s_mov_b32 s12, -1
	s_waitcnt vmcnt(0)
	v_cmp_ngt_f32_e32 vcc_lo, v4, v2
	s_cbranch_vccz .LBB11_55
; %bb.57:                               ;   in Loop: Header=BB11_54 Depth=1
	s_mov_b64 s[34:35], s[16:17]
                                        ; implicit-def: $sgpr30_sgpr31
                                        ; implicit-def: $sgpr24_sgpr25
                                        ; implicit-def: $sgpr38_sgpr39
.LBB11_58:                              ;   in Loop: Header=BB11_54 Depth=1
	s_and_not1_b32 vcc_lo, exec_lo, s12
	s_cbranch_vccz .LBB11_53
; %bb.59:                               ;   in Loop: Header=BB11_54 Depth=1
	s_bfe_i64 s[34:35], s[38:39], 0x200000
	s_branch .LBB11_53
.LBB11_60:
	s_cmp_lt_i32 s44, 11
	s_cbranch_scc1 .LBB11_69
; %bb.61:
	s_add_u32 s8, s0, s4
	v_mov_b32_e32 v1, 0
	s_addc_u32 s9, s1, s5
	s_add_u32 s8, s8, 40
	s_addc_u32 s9, s9, 0
	s_mov_b64 s[10:11], 10
	s_mov_b32 s13, 0
	s_mov_b64 s[14:15], s[2:3]
	s_branch .LBB11_63
.LBB11_62:                              ;   in Loop: Header=BB11_63 Depth=1
	s_lshl_b64 s[16:17], s[34:35], 2
	s_delay_alu instid0(SALU_CYCLE_1)
	s_add_u32 s24, s2, s16
	s_addc_u32 s25, s3, s17
	s_add_u32 s16, s40, s16
	s_addc_u32 s17, s41, s17
	;; [unrolled: 2-line block ×5, first 2 shown]
	s_cmp_lt_i32 s10, s44
	s_waitcnt vmcnt(1)
	global_store_b32 v1, v2, s[24:25]
	s_waitcnt vmcnt(0)
	global_store_b32 v1, v3, s[16:17]
	s_cbranch_scc0 .LBB11_69
.LBB11_63:                              ; =>This Loop Header: Depth=1
                                        ;     Child Loop BB11_65 Depth 2
	s_mov_b32 s12, s10
	s_mov_b64 s[30:31], s[8:9]
	s_lshl_b64 s[16:17], s[12:13], 2
	s_mov_b64 s[34:35], s[12:13]
	s_add_u32 s24, s2, s16
	s_addc_u32 s25, s3, s17
	s_add_u32 s16, s40, s16
	s_addc_u32 s17, s41, s17
	s_clause 0x1
	global_load_b32 v2, v1, s[24:25]
	global_load_b32 v3, v1, s[16:17]
	s_cmp_lt_u32 s10, 10
	s_mov_b64 s[24:25], s[14:15]
	s_mov_b64 s[16:17], s[10:11]
	s_cbranch_scc0 .LBB11_65
	s_branch .LBB11_62
	.p2align	6
.LBB11_64:                              ;   in Loop: Header=BB11_65 Depth=2
	global_load_b32 v5, v1, s[30:31] offset:-40
	s_add_u32 s34, s30, 0xffffffd8
	s_addc_u32 s35, s31, -1
	s_add_u32 s38, s16, -10
	s_addc_u32 s39, s17, -1
	global_store_b32 v1, v4, s[24:25] offset:40
	s_add_u32 s24, s24, 0xffffffd8
	s_addc_u32 s25, s25, -1
	s_cmp_lt_i32 s16, 20
	s_mov_b32 s12, 0
	s_mov_b64 s[16:17], s[38:39]
	s_cselect_b32 s33, -1, 0
	s_waitcnt vmcnt(0)
	global_store_b32 v1, v5, s[30:31]
	s_mov_b64 s[30:31], s[34:35]
                                        ; implicit-def: $sgpr34_sgpr35
	s_and_not1_b32 vcc_lo, exec_lo, s33
	s_cbranch_vccz .LBB11_67
.LBB11_65:                              ;   Parent Loop BB11_63 Depth=1
                                        ; =>  This Inner Loop Header: Depth=2
	global_load_b32 v4, v1, s[24:25]
	s_mov_b32 s12, -1
	s_waitcnt vmcnt(0)
	v_cmp_ngt_f32_e32 vcc_lo, v4, v2
	s_cbranch_vccz .LBB11_64
; %bb.66:                               ;   in Loop: Header=BB11_63 Depth=1
	s_mov_b64 s[34:35], s[16:17]
                                        ; implicit-def: $sgpr30_sgpr31
                                        ; implicit-def: $sgpr24_sgpr25
                                        ; implicit-def: $sgpr38_sgpr39
.LBB11_67:                              ;   in Loop: Header=BB11_63 Depth=1
	s_and_not1_b32 vcc_lo, exec_lo, s12
	s_cbranch_vccz .LBB11_62
; %bb.68:                               ;   in Loop: Header=BB11_63 Depth=1
	s_bfe_i64 s[34:35], s[38:39], 0x200000
	s_branch .LBB11_62
.LBB11_69:
	s_cmp_lt_i32 s44, 5
	s_cbranch_scc1 .LBB11_78
; %bb.70:
	s_add_u32 s8, s0, s4
	s_addc_u32 s9, s1, s5
	s_add_u32 s8, s8, 16
	s_addc_u32 s9, s9, 0
	s_add_u32 s10, s22, s6
	v_mov_b32_e32 v1, 0
	s_addc_u32 s11, s23, s7
	s_add_u32 s10, s10, 16
	s_addc_u32 s11, s11, 0
	s_mov_b64 s[12:13], 4
	s_mov_b32 s15, 0
	s_branch .LBB11_72
.LBB11_71:                              ;   in Loop: Header=BB11_72 Depth=1
	s_lshl_b64 s[16:17], s[34:35], 2
	s_delay_alu instid0(SALU_CYCLE_1)
	s_add_u32 s24, s2, s16
	s_addc_u32 s25, s3, s17
	s_add_u32 s16, s40, s16
	s_addc_u32 s17, s41, s17
	;; [unrolled: 2-line block ×5, first 2 shown]
	s_cmp_lt_i32 s12, s44
	s_waitcnt vmcnt(1)
	global_store_b32 v1, v2, s[24:25]
	s_waitcnt vmcnt(0)
	global_store_b32 v1, v3, s[16:17]
	s_cbranch_scc0 .LBB11_78
.LBB11_72:                              ; =>This Loop Header: Depth=1
                                        ;     Child Loop BB11_74 Depth 2
	s_mov_b32 s14, s12
	s_mov_b64 s[30:31], s[10:11]
	s_lshl_b64 s[16:17], s[14:15], 2
	s_mov_b64 s[34:35], s[14:15]
	s_add_u32 s24, s2, s16
	s_addc_u32 s25, s3, s17
	s_add_u32 s16, s40, s16
	s_addc_u32 s17, s41, s17
	s_clause 0x1
	global_load_b32 v2, v1, s[24:25]
	global_load_b32 v3, v1, s[16:17]
	s_cmp_lt_u32 s12, 4
	s_mov_b64 s[24:25], s[8:9]
	s_mov_b64 s[16:17], s[12:13]
	s_cbranch_scc0 .LBB11_74
	s_branch .LBB11_71
	.p2align	6
.LBB11_73:                              ;   in Loop: Header=BB11_74 Depth=2
	global_load_b32 v5, v1, s[24:25] offset:-16
	s_add_u32 s48, s24, -16
	s_addc_u32 s49, s25, -1
	s_add_u32 s38, s16, -4
	s_addc_u32 s39, s17, -1
	s_cmp_lt_i32 s16, 8
	s_mov_b32 s14, 0
	s_mov_b64 s[16:17], s[38:39]
	s_cselect_b32 s33, -1, 0
	global_store_b32 v1, v4, s[30:31]
	s_waitcnt vmcnt(0)
	global_store_b32 v1, v5, s[24:25]
	s_mov_b64 s[24:25], s[48:49]
	s_mov_b64 s[30:31], s[34:35]
                                        ; implicit-def: $sgpr34_sgpr35
	s_and_not1_b32 vcc_lo, exec_lo, s33
	s_cbranch_vccz .LBB11_76
.LBB11_74:                              ;   Parent Loop BB11_72 Depth=1
                                        ; =>  This Inner Loop Header: Depth=2
	global_load_b32 v4, v1, s[30:31] offset:-16
	s_add_u32 s34, s30, -16
	s_addc_u32 s35, s31, -1
	s_mov_b32 s14, -1
	s_waitcnt vmcnt(0)
	v_cmp_ngt_f32_e32 vcc_lo, v4, v2
	s_cbranch_vccz .LBB11_73
; %bb.75:                               ;   in Loop: Header=BB11_72 Depth=1
	s_mov_b64 s[34:35], s[16:17]
                                        ; implicit-def: $sgpr24_sgpr25
                                        ; implicit-def: $sgpr30_sgpr31
                                        ; implicit-def: $sgpr38_sgpr39
.LBB11_76:                              ;   in Loop: Header=BB11_72 Depth=1
	s_and_not1_b32 vcc_lo, exec_lo, s14
	s_cbranch_vccz .LBB11_71
; %bb.77:                               ;   in Loop: Header=BB11_72 Depth=1
	s_bfe_i64 s[34:35], s[38:39], 0x200000
	s_branch .LBB11_71
.LBB11_78:
	s_cmp_lt_i32 s44, 2
	s_cbranch_scc1 .LBB11_87
; %bb.79:
	s_add_u32 s0, s0, s4
	s_addc_u32 s1, s1, s5
	s_add_u32 s0, s0, 4
	s_addc_u32 s1, s1, 0
	s_add_u32 s4, s22, s6
	v_mov_b32_e32 v1, 0
	s_addc_u32 s5, s23, s7
	s_add_u32 s4, s4, 4
	s_addc_u32 s5, s5, 0
	s_mov_b64 s[6:7], 1
	s_branch .LBB11_81
.LBB11_80:                              ;   in Loop: Header=BB11_81 Depth=1
	s_lshl_b64 s[8:9], s[8:9], 2
	s_delay_alu instid0(SALU_CYCLE_1)
	s_add_u32 s10, s2, s8
	s_addc_u32 s11, s3, s9
	s_add_u32 s8, s40, s8
	s_addc_u32 s9, s41, s9
	;; [unrolled: 2-line block ×5, first 2 shown]
	s_cmp_ge_i32 s6, s44
	s_clause 0x1
	global_store_b32 v1, v2, s[10:11]
	global_store_b32 v1, v3, s[8:9]
	s_cbranch_scc1 .LBB11_87
.LBB11_81:                              ; =>This Loop Header: Depth=1
                                        ;     Child Loop BB11_83 Depth 2
	s_lshl_b64 s[8:9], s[6:7], 2
	s_mov_b64 s[12:13], s[4:5]
	s_and_b32 s9, s9, 3
	s_add_u32 s10, s2, s8
	s_addc_u32 s11, s3, s9
	s_add_u32 s8, s40, s8
	s_addc_u32 s9, s41, s9
	s_clause 0x1
	global_load_b32 v2, v1, s[10:11]
	global_load_b32 v3, v1, s[8:9]
	s_mov_b64 s[10:11], s[0:1]
	s_mov_b64 s[8:9], s[6:7]
	s_branch .LBB11_83
	.p2align	6
.LBB11_82:                              ;   in Loop: Header=BB11_83 Depth=2
	global_load_b32 v5, v1, s[10:11] offset:-4
	s_add_u32 s24, s10, -4
	s_addc_u32 s25, s11, -1
	s_add_u32 s14, s8, -1
	s_addc_u32 s15, s9, -1
	s_cmp_lt_i32 s8, 2
	s_mov_b32 s22, 0
	s_mov_b64 s[8:9], s[14:15]
	s_cselect_b32 s23, -1, 0
	global_store_b32 v1, v4, s[12:13]
	s_waitcnt vmcnt(0)
	global_store_b32 v1, v5, s[10:11]
	s_mov_b64 s[10:11], s[24:25]
	s_mov_b64 s[12:13], s[16:17]
	s_and_not1_b32 vcc_lo, exec_lo, s23
	s_cbranch_vccz .LBB11_85
.LBB11_83:                              ;   Parent Loop BB11_81 Depth=1
                                        ; =>  This Inner Loop Header: Depth=2
	global_load_b32 v4, v1, s[12:13] offset:-4
	s_add_u32 s16, s12, -4
	s_addc_u32 s17, s13, -1
	s_mov_b32 s22, -1
	s_waitcnt vmcnt(0)
	v_cmp_ngt_f32_e32 vcc_lo, v4, v2
	s_cbranch_vccz .LBB11_82
; %bb.84:                               ;   in Loop: Header=BB11_81 Depth=1
                                        ; implicit-def: $sgpr10_sgpr11
                                        ; implicit-def: $sgpr12_sgpr13
                                        ; implicit-def: $sgpr14_sgpr15
.LBB11_85:                              ;   in Loop: Header=BB11_81 Depth=1
	s_and_not1_b32 vcc_lo, exec_lo, s22
	s_cbranch_vccz .LBB11_80
; %bb.86:                               ;   in Loop: Header=BB11_81 Depth=1
	s_bfe_i64 s[8:9], s[14:15], 0x200000
	s_branch .LBB11_80
.LBB11_87:
	s_or_b32 exec_lo, exec_lo, s29
	s_cmp_lt_i32 s44, 2
	s_mov_b32 s35, 0
	s_cselect_b32 s5, -1, 0
	s_waitcnt_vscnt null, 0x0
	s_and_b32 vcc_lo, exec_lo, s5
	s_barrier
	buffer_gl0_inv
	s_cbranch_vccnz .LBB11_95
; %bb.88:
	s_add_i32 s4, s44, -1
	s_mov_b32 s5, -1
	s_mov_b32 s0, 0
	s_mov_b32 s1, exec_lo
	v_cmpx_gt_u32_e64 s4, v0
	s_cbranch_execz .LBB11_97
; %bb.89:
	v_dual_mov_b32 v2, 0 :: v_dual_mov_b32 v1, v0
	s_add_u32 s5, s2, 4
	s_addc_u32 s8, s3, 0
	s_mov_b32 s6, 0
                                        ; implicit-def: $sgpr7
	s_set_inst_prefetch_distance 0x1
	s_branch .LBB11_91
	.p2align	6
.LBB11_90:                              ;   in Loop: Header=BB11_91 Depth=1
	s_or_b32 exec_lo, exec_lo, s11
	s_xor_b32 s0, s0, -1
	s_and_b32 s9, exec_lo, s10
	s_delay_alu instid0(SALU_CYCLE_1) | instskip(SKIP_2) | instid1(SALU_CYCLE_1)
	s_or_b32 s6, s9, s6
	s_and_not1_b32 s7, s7, exec_lo
	s_and_b32 s0, s0, exec_lo
	s_or_b32 s7, s7, s0
	s_and_not1_b32 exec_lo, exec_lo, s6
	s_cbranch_execz .LBB11_96
.LBB11_91:                              ; =>This Inner Loop Header: Depth=1
	v_lshlrev_b64 v[3:4], 2, v[1:2]
	s_mov_b32 s10, exec_lo
                                        ; implicit-def: $sgpr0
	s_delay_alu instid0(VALU_DEP_1) | instskip(NEXT) | instid1(VALU_DEP_2)
	v_add_co_u32 v3, vcc_lo, s2, v3
	v_add_co_ci_u32_e32 v4, vcc_lo, s3, v4, vcc_lo
	global_load_b32 v3, v[3:4], off
	s_waitcnt vmcnt(0)
	v_cmp_u_f32_e64 s9, v3, v3
	v_cmpx_o_f32_e32 v3, v3
	s_cbranch_execz .LBB11_93
; %bb.92:                               ;   in Loop: Header=BB11_91 Depth=1
	v_ashrrev_i32_e32 v5, 31, v1
	v_mov_b32_e32 v4, v1
	s_and_not1_b32 s9, s9, exec_lo
	s_delay_alu instid0(VALU_DEP_1) | instskip(NEXT) | instid1(VALU_DEP_1)
	v_lshlrev_b64 v[4:5], 2, v[4:5]
	v_add_co_u32 v4, vcc_lo, s5, v4
	s_delay_alu instid0(VALU_DEP_2) | instskip(SKIP_4) | instid1(VALU_DEP_1)
	v_add_co_ci_u32_e32 v5, vcc_lo, s8, v5, vcc_lo
	global_load_b32 v4, v[4:5], off
	s_waitcnt vmcnt(0)
	v_cmp_u_f32_e32 vcc_lo, v4, v4
	v_cmp_le_f32_e64 s0, v3, v4
	s_or_b32 s0, vcc_lo, s0
	s_delay_alu instid0(SALU_CYCLE_1)
	s_and_b32 s11, s0, exec_lo
	s_mov_b32 s0, -1
	s_or_b32 s9, s9, s11
.LBB11_93:                              ;   in Loop: Header=BB11_91 Depth=1
	s_or_b32 exec_lo, exec_lo, s10
	s_mov_b32 s10, -1
	s_and_saveexec_b32 s11, s9
	s_cbranch_execz .LBB11_90
; %bb.94:                               ;   in Loop: Header=BB11_91 Depth=1
	v_add_nc_u32_e32 v1, s46, v1
	s_and_not1_b32 s0, s0, exec_lo
	s_delay_alu instid0(VALU_DEP_1)
	v_cmp_le_u32_e32 vcc_lo, s4, v1
	s_or_not1_b32 s10, vcc_lo, exec_lo
	s_branch .LBB11_90
.LBB11_95:
	s_mov_b32 s0, 0
	s_and_saveexec_b32 s1, s5
	s_cbranch_execnz .LBB11_98
	s_branch .LBB11_99
.LBB11_96:
	s_set_inst_prefetch_distance 0x2
	s_or_b32 exec_lo, exec_lo, s6
	s_delay_alu instid0(SALU_CYCLE_1)
	s_mov_b32 s0, exec_lo
	s_or_not1_b32 s5, s7, exec_lo
.LBB11_97:
	s_or_b32 exec_lo, exec_lo, s1
	s_and_saveexec_b32 s1, s5
	s_cbranch_execz .LBB11_99
.LBB11_98:
	s_mov_b32 s35, exec_lo
	s_barrier
	s_and_not1_b32 s0, s0, exec_lo
	buffer_gl0_inv
.LBB11_99:
	s_or_b32 exec_lo, exec_lo, s1
	s_mov_b32 s17, 0
	s_mov_b32 s29, 0
	s_and_saveexec_b32 s1, s0
	s_delay_alu instid0(SALU_CYCLE_1)
	s_xor_b32 s22, exec_lo, s1
	s_cbranch_execz .LBB11_101
; %bb.100:
	s_add_u32 s8, s18, 0x58
	s_addc_u32 s9, s19, 0
	s_getpc_b64 s[0:1]
	s_add_u32 s0, s0, .str.5@rel32@lo+4
	s_addc_u32 s1, s1, .str.5@rel32@hi+12
	s_getpc_b64 s[2:3]
	s_add_u32 s2, s2, .str.6@rel32@lo+4
	s_addc_u32 s3, s3, .str.6@rel32@hi+12
	s_getpc_b64 s[4:5]
	s_add_u32 s4, s4, __PRETTY_FUNCTION__._ZN9rocsolver6v33100L20shell_sort_ascendingIfiEEvT0_PT_PS2_@rel32@lo+4
	s_addc_u32 s5, s5, __PRETTY_FUNCTION__._ZN9rocsolver6v33100L20shell_sort_ascendingIfiEEvT0_PT_PS2_@rel32@hi+12
	v_dual_mov_b32 v0, s0 :: v_dual_mov_b32 v1, s1
	v_dual_mov_b32 v2, s2 :: v_dual_mov_b32 v3, s3
	;; [unrolled: 1-line block ×3, first 2 shown]
	v_mov_b32_e32 v6, s5
	s_getpc_b64 s[6:7]
	s_add_u32 s6, s6, __assert_fail@rel32@lo+4
	s_addc_u32 s7, s7, __assert_fail@rel32@hi+12
	s_delay_alu instid0(SALU_CYCLE_1)
	s_swappc_b64 s[30:31], s[6:7]
	s_mov_b32 s29, exec_lo
                                        ; implicit-def: $vgpr0
.LBB11_101:
	s_or_b32 exec_lo, exec_lo, s22
	s_delay_alu instid0(SALU_CYCLE_1)
	s_and_b32 vcc_lo, exec_lo, s17
	s_cbranch_vccz .LBB11_23
.LBB11_102:
	v_add3_u32 v0, v43, v42, v41
	s_or_b32 s35, s35, exec_lo
	s_delay_alu instid0(SALU_CYCLE_1)
	s_and_saveexec_b32 s17, s35
	s_cbranch_execz .LBB11_133
.LBB11_103:
	s_cmp_lt_i32 s44, 1
	s_waitcnt_vscnt null, 0x0
	s_barrier
	buffer_gl0_inv
	s_cbranch_scc1 .LBB11_122
; %bb.104:
	s_load_b64 s[6:7], s[18:19], 0x28
	s_mul_i32 s2, s28, s37
	s_mul_hi_u32 s3, s28, s36
	s_mul_i32 s8, s28, s36
	s_add_i32 s9, s3, s2
	v_cmp_eq_u32_e64 s0, 0, v0
	s_lshl_b64 s[8:9], s[8:9], 2
	v_cmp_gt_i32_e64 s1, s43, v0
	v_cmp_gt_i32_e64 s2, s45, v0
	v_mov_b32_e32 v4, 0
	s_mov_b32 s5, 0
	s_waitcnt lgkmcnt(0)
	s_ashr_i32 s11, s6, 31
	s_mov_b32 s10, s6
	s_add_u32 s3, s26, s8
	s_addc_u32 s4, s27, s9
	s_lshl_b64 s[8:9], s[10:11], 2
	s_mov_b32 s13, s7
	s_add_u32 s3, s3, s8
	s_addc_u32 s12, s4, s9
	s_cmp_lg_u64 s[20:21], 0
	s_mov_b32 s4, s5
	s_cselect_b32 s14, -1, 0
	s_branch .LBB11_106
.LBB11_105:                             ;   in Loop: Header=BB11_106 Depth=1
	s_add_i32 s4, s4, 1
	s_delay_alu instid0(SALU_CYCLE_1)
	s_cmp_eq_u32 s4, s44
	s_cbranch_scc1 .LBB11_122
.LBB11_106:                             ; =>This Loop Header: Depth=1
                                        ;     Child Loop BB11_109 Depth 2
                                        ;       Child Loop BB11_113 Depth 3
                                        ;       Child Loop BB11_118 Depth 3
	s_lshl_b64 s[6:7], s[4:5], 2
	s_delay_alu instid0(SALU_CYCLE_1)
	s_add_u32 s6, s40, s6
	s_addc_u32 s7, s41, s7
	s_barrier
	buffer_gl0_inv
	global_load_b32 v1, v4, s[6:7]
	s_waitcnt vmcnt(0)
	v_cmp_eq_u32_e32 vcc_lo, s4, v1
	v_readfirstlane_b32 s8, v1
	s_cbranch_vccz .LBB11_109
	s_branch .LBB11_105
.LBB11_107:                             ;   in Loop: Header=BB11_109 Depth=2
	s_set_inst_prefetch_distance 0x2
	s_or_b32 exec_lo, exec_lo, s10
	s_waitcnt lgkmcnt(0)
	s_waitcnt_vscnt null, 0x0
	s_barrier
	buffer_gl0_inv
.LBB11_108:                             ;   in Loop: Header=BB11_109 Depth=2
	global_load_b32 v1, v4, s[6:7]
	s_waitcnt vmcnt(0)
	v_cmp_ne_u32_e32 vcc_lo, s4, v1
	v_readfirstlane_b32 s8, v1
	s_cbranch_vccz .LBB11_105
.LBB11_109:                             ;   Parent Loop BB11_106 Depth=1
                                        ; =>  This Loop Header: Depth=2
                                        ;       Child Loop BB11_113 Depth 3
                                        ;       Child Loop BB11_118 Depth 3
	s_delay_alu instid0(VALU_DEP_1) | instskip(NEXT) | instid1(SALU_CYCLE_1)
	s_ashr_i32 s9, s8, 31
	s_lshl_b64 s[10:11], s[8:9], 2
	s_delay_alu instid0(SALU_CYCLE_1)
	s_add_u32 s10, s40, s10
	s_addc_u32 s11, s41, s11
	global_load_b32 v1, v4, s[10:11]
	s_waitcnt vmcnt(0)
	s_barrier
	buffer_gl0_inv
	v_readfirstlane_b32 s9, v1
	s_and_saveexec_b32 s15, s0
; %bb.110:                              ;   in Loop: Header=BB11_109 Depth=2
	s_delay_alu instid0(VALU_DEP_1)
	v_dual_mov_b32 v1, s8 :: v_dual_mov_b32 v2, s9
	s_clause 0x1
	global_store_b32 v4, v1, s[10:11]
	global_store_b32 v4, v2, s[6:7]
; %bb.111:                              ;   in Loop: Header=BB11_109 Depth=2
	s_or_b32 exec_lo, exec_lo, s15
	s_waitcnt_vscnt null, 0x0
	s_barrier
	buffer_gl0_inv
	s_barrier
	buffer_gl0_inv
	s_and_saveexec_b32 s10, s1
	s_cbranch_execz .LBB11_114
; %bb.112:                              ;   in Loop: Header=BB11_109 Depth=2
	s_mul_hi_i32 s23, s8, s13
	s_mul_i32 s22, s8, s13
	s_mul_hi_i32 s25, s9, s13
	s_lshl_b64 s[22:23], s[22:23], 2
	s_mul_i32 s24, s9, s13
	s_add_u32 s11, s3, s22
	s_addc_u32 s15, s12, s23
	s_lshl_b64 s[22:23], s[24:25], 2
	v_mov_b32_e32 v1, v0
	s_add_u32 s16, s3, s22
	s_addc_u32 s22, s12, s23
	s_mov_b32 s23, 0
	.p2align	6
.LBB11_113:                             ;   Parent Loop BB11_106 Depth=1
                                        ;     Parent Loop BB11_109 Depth=2
                                        ; =>    This Inner Loop Header: Depth=3
	s_delay_alu instid0(VALU_DEP_1) | instskip(NEXT) | instid1(VALU_DEP_1)
	v_ashrrev_i32_e32 v2, 31, v1
	v_lshlrev_b64 v[2:3], 2, v[1:2]
	v_add_nc_u32_e32 v1, s42, v1
	s_delay_alu instid0(VALU_DEP_2) | instskip(NEXT) | instid1(VALU_DEP_3)
	v_add_co_u32 v5, vcc_lo, s16, v2
	v_add_co_ci_u32_e32 v6, vcc_lo, s22, v3, vcc_lo
	v_add_co_u32 v2, vcc_lo, s11, v2
	v_add_co_ci_u32_e32 v3, vcc_lo, s15, v3, vcc_lo
	v_cmp_le_i32_e32 vcc_lo, s43, v1
	s_clause 0x1
	global_load_b32 v7, v[5:6], off
	global_load_b32 v8, v[2:3], off
	s_waitcnt vmcnt(1)
	global_store_b32 v[2:3], v7, off
	s_waitcnt vmcnt(0)
	global_store_b32 v[5:6], v8, off
	s_or_b32 s23, vcc_lo, s23
	s_delay_alu instid0(SALU_CYCLE_1)
	s_and_not1_b32 exec_lo, exec_lo, s23
	s_cbranch_execnz .LBB11_113
.LBB11_114:                             ;   in Loop: Header=BB11_109 Depth=2
	s_or_b32 exec_lo, exec_lo, s10
	s_delay_alu instid0(SALU_CYCLE_1)
	s_and_b32 vcc_lo, exec_lo, s14
	s_waitcnt_vscnt null, 0x0
	s_barrier
	buffer_gl0_inv
	s_cbranch_vccz .LBB11_108
; %bb.115:                              ;   in Loop: Header=BB11_109 Depth=2
	s_barrier
	buffer_gl0_inv
	s_and_saveexec_b32 s10, s2
	s_cbranch_execz .LBB11_107
; %bb.116:                              ;   in Loop: Header=BB11_109 Depth=2
	v_mov_b32_e32 v1, v0
	s_add_i32 s8, s8, 1
	s_add_i32 s9, s9, 1
	s_mov_b32 s11, 0
	s_set_inst_prefetch_distance 0x1
	s_branch .LBB11_118
	.p2align	6
.LBB11_117:                             ;   in Loop: Header=BB11_118 Depth=3
	s_or_b32 exec_lo, exec_lo, s16
	v_add_nc_u32_e32 v1, s42, v1
	s_delay_alu instid0(VALU_DEP_1) | instskip(SKIP_1) | instid1(SALU_CYCLE_1)
	v_cmp_le_i32_e32 vcc_lo, s45, v1
	s_or_b32 s11, vcc_lo, s11
	s_and_not1_b32 exec_lo, exec_lo, s11
	s_cbranch_execz .LBB11_107
.LBB11_118:                             ;   Parent Loop BB11_106 Depth=1
                                        ;     Parent Loop BB11_109 Depth=2
                                        ; =>    This Inner Loop Header: Depth=3
	v_ashrrev_i32_e32 v2, 31, v1
	v_mov_b32_e32 v5, s9
	s_mov_b32 s16, exec_lo
	s_delay_alu instid0(VALU_DEP_2) | instskip(NEXT) | instid1(VALU_DEP_1)
	v_lshlrev_b64 v[2:3], 2, v[1:2]
	v_add_co_u32 v2, vcc_lo, s20, v2
	s_delay_alu instid0(VALU_DEP_2)
	v_add_co_ci_u32_e32 v3, vcc_lo, s21, v3, vcc_lo
	flat_load_b32 v6, v[2:3]
	s_waitcnt vmcnt(0) lgkmcnt(0)
	v_cmp_eq_u32_e64 s15, s8, v6
	v_cmpx_ne_u32_e64 s8, v6
; %bb.119:                              ;   in Loop: Header=BB11_118 Depth=3
	v_cmp_eq_u32_e32 vcc_lo, s9, v6
	v_mov_b32_e32 v5, s8
	s_delay_alu instid0(VALU_DEP_4) | instskip(SKIP_1) | instid1(SALU_CYCLE_1)
	s_and_not1_b32 s15, s15, exec_lo
	s_and_b32 s22, vcc_lo, exec_lo
	s_or_b32 s15, s15, s22
; %bb.120:                              ;   in Loop: Header=BB11_118 Depth=3
	s_or_b32 exec_lo, exec_lo, s16
	s_and_saveexec_b32 s16, s15
	s_cbranch_execz .LBB11_117
; %bb.121:                              ;   in Loop: Header=BB11_118 Depth=3
	flat_store_b32 v[2:3], v5
	s_branch .LBB11_117
.LBB11_122:
	s_mov_b32 s2, -1
	s_mov_b32 s1, 0
	s_mov_b32 s0, exec_lo
	s_barrier
	buffer_gl0_inv
	v_cmpx_gt_u32_e64 s44, v0
	s_cbranch_execz .LBB11_128
; %bb.123:
	v_mov_b32_e32 v1, 0
                                        ; implicit-def: $sgpr2
                                        ; implicit-def: $sgpr4
                                        ; implicit-def: $sgpr3
	s_set_inst_prefetch_distance 0x1
	s_branch .LBB11_125
	.p2align	6
.LBB11_124:                             ;   in Loop: Header=BB11_125 Depth=1
	s_or_b32 exec_lo, exec_lo, s5
	s_xor_b32 s5, s3, -1
	s_and_b32 s6, exec_lo, s4
	s_delay_alu instid0(SALU_CYCLE_1) | instskip(SKIP_2) | instid1(SALU_CYCLE_1)
	s_or_b32 s1, s6, s1
	s_and_not1_b32 s2, s2, exec_lo
	s_and_b32 s5, s5, exec_lo
	s_or_b32 s2, s2, s5
	s_and_not1_b32 exec_lo, exec_lo, s1
	s_cbranch_execz .LBB11_127
.LBB11_125:                             ; =>This Inner Loop Header: Depth=1
	s_delay_alu instid0(VALU_DEP_1) | instskip(SKIP_3) | instid1(VALU_DEP_1)
	v_lshlrev_b64 v[2:3], 2, v[0:1]
	s_or_b32 s3, s3, exec_lo
	s_or_b32 s4, s4, exec_lo
	s_mov_b32 s5, exec_lo
	v_add_co_u32 v2, vcc_lo, s40, v2
	s_delay_alu instid0(VALU_DEP_2)
	v_add_co_ci_u32_e32 v3, vcc_lo, s41, v3, vcc_lo
	global_load_b32 v2, v[2:3], off
	s_waitcnt vmcnt(0)
	v_cmpx_eq_u32_e64 v0, v2
	s_cbranch_execz .LBB11_124
; %bb.126:                              ;   in Loop: Header=BB11_125 Depth=1
	v_add_nc_u32_e32 v0, s42, v0
	s_and_not1_b32 s4, s4, exec_lo
	s_and_not1_b32 s3, s3, exec_lo
	s_delay_alu instid0(VALU_DEP_1) | instskip(SKIP_1) | instid1(SALU_CYCLE_1)
	v_cmp_le_u32_e32 vcc_lo, s44, v0
	s_and_b32 s6, vcc_lo, exec_lo
	s_or_b32 s4, s4, s6
	s_branch .LBB11_124
.LBB11_127:
	s_set_inst_prefetch_distance 0x2
	s_or_b32 exec_lo, exec_lo, s1
	s_delay_alu instid0(SALU_CYCLE_1)
	s_mov_b32 s1, exec_lo
	s_or_not1_b32 s2, s2, exec_lo
.LBB11_128:
	s_or_b32 exec_lo, exec_lo, s0
	s_and_saveexec_b32 s0, s2
	s_cbranch_execz .LBB11_130
; %bb.129:
	s_barrier
	buffer_gl0_inv
	s_barrier
	s_and_not1_b32 s1, s1, exec_lo
	buffer_gl0_inv
.LBB11_130:
	s_or_b32 exec_lo, exec_lo, s0
	s_mov_b32 s0, s29
	s_and_saveexec_b32 s2, s1
	s_delay_alu instid0(SALU_CYCLE_1)
	s_xor_b32 s20, exec_lo, s2
	s_cbranch_execz .LBB11_132
; %bb.131:
	s_add_u32 s8, s18, 0x58
	s_addc_u32 s9, s19, 0
	s_getpc_b64 s[0:1]
	s_add_u32 s0, s0, .str.8@rel32@lo+4
	s_addc_u32 s1, s1, .str.8@rel32@hi+12
	s_getpc_b64 s[2:3]
	s_add_u32 s2, s2, .str.3@rel32@lo+4
	s_addc_u32 s3, s3, .str.3@rel32@hi+12
	s_getpc_b64 s[4:5]
	s_add_u32 s4, s4, __PRETTY_FUNCTION__._ZN9rocsolver6v33100L18syevx_permute_swapIfEEviiiPiPT_iS2_@rel32@lo+4
	s_addc_u32 s5, s5, __PRETTY_FUNCTION__._ZN9rocsolver6v33100L18syevx_permute_swapIfEEviiiPiPT_iS2_@rel32@hi+12
	v_dual_mov_b32 v0, s0 :: v_dual_mov_b32 v1, s1
	v_dual_mov_b32 v2, s2 :: v_dual_mov_b32 v3, s3
	;; [unrolled: 1-line block ×3, first 2 shown]
	v_mov_b32_e32 v6, s5
	s_getpc_b64 s[6:7]
	s_add_u32 s6, s6, __assert_fail@rel32@lo+4
	s_addc_u32 s7, s7, __assert_fail@rel32@hi+12
	s_delay_alu instid0(SALU_CYCLE_1)
	s_swappc_b64 s[30:31], s[6:7]
	s_or_b32 s0, s29, exec_lo
.LBB11_132:
	s_or_b32 exec_lo, exec_lo, s20
	s_delay_alu instid0(SALU_CYCLE_1) | instskip(SKIP_1) | instid1(SALU_CYCLE_1)
	s_and_not1_b32 s1, s29, exec_lo
	s_and_b32 s0, s0, exec_lo
	s_or_b32 s29, s1, s0
.LBB11_133:
	s_or_b32 exec_lo, exec_lo, s17
	s_branch .LBB11_135
.LBB11_134:
	s_add_u32 s8, s18, 0x58
	s_addc_u32 s9, s19, 0
	s_getpc_b64 s[0:1]
	s_add_u32 s0, s0, .str.4@rel32@lo+4
	s_addc_u32 s1, s1, .str.4@rel32@hi+12
	s_getpc_b64 s[2:3]
	s_add_u32 s2, s2, .str.3@rel32@lo+4
	s_addc_u32 s3, s3, .str.3@rel32@hi+12
	s_getpc_b64 s[4:5]
	s_add_u32 s4, s4, __PRETTY_FUNCTION__._ZN9rocsolver6v33100L15syevx_sort_eigsIffPfEEviPiPT0_lT1_iilS3_lS3_S3_@rel32@lo+4
	s_addc_u32 s5, s5, __PRETTY_FUNCTION__._ZN9rocsolver6v33100L15syevx_sort_eigsIffPfEEviPiPT0_lT1_iilS3_lS3_S3_@rel32@hi+12
	v_dual_mov_b32 v0, s0 :: v_dual_mov_b32 v1, s1
	v_dual_mov_b32 v2, s2 :: v_dual_mov_b32 v3, s3
	;; [unrolled: 1-line block ×3, first 2 shown]
	v_mov_b32_e32 v6, s5
	s_getpc_b64 s[6:7]
	s_add_u32 s6, s6, __assert_fail@rel32@lo+4
	s_addc_u32 s7, s7, __assert_fail@rel32@hi+12
	s_delay_alu instid0(SALU_CYCLE_1)
	s_swappc_b64 s[30:31], s[6:7]
	s_or_b32 s29, s29, exec_lo
.LBB11_135:
	s_branch .LBB11_4
.LBB11_136:
	s_add_u32 s8, s18, 0x58
	s_addc_u32 s9, s19, 0
	s_getpc_b64 s[0:1]
	s_add_u32 s0, s0, .str.2@rel32@lo+4
	s_addc_u32 s1, s1, .str.2@rel32@hi+12
	s_getpc_b64 s[2:3]
	s_add_u32 s2, s2, .str.3@rel32@lo+4
	s_addc_u32 s3, s3, .str.3@rel32@hi+12
	s_getpc_b64 s[4:5]
	s_add_u32 s4, s4, __PRETTY_FUNCTION__._ZN9rocsolver6v33100L15syevx_sort_eigsIffPfEEviPiPT0_lT1_iilS3_lS3_S3_@rel32@lo+4
	s_addc_u32 s5, s5, __PRETTY_FUNCTION__._ZN9rocsolver6v33100L15syevx_sort_eigsIffPfEEviPiPT0_lT1_iilS3_lS3_S3_@rel32@hi+12
	v_dual_mov_b32 v0, s0 :: v_dual_mov_b32 v1, s1
	v_dual_mov_b32 v2, s2 :: v_dual_mov_b32 v3, s3
	;; [unrolled: 1-line block ×3, first 2 shown]
	v_mov_b32_e32 v6, s5
	s_getpc_b64 s[6:7]
	s_add_u32 s6, s6, __assert_fail@rel32@lo+4
	s_addc_u32 s7, s7, __assert_fail@rel32@hi+12
	s_delay_alu instid0(SALU_CYCLE_1) | instskip(SKIP_1) | instid1(SALU_CYCLE_1)
	s_swappc_b64 s[30:31], s[6:7]
	s_or_b32 s29, s29, exec_lo
	s_and_saveexec_b32 s0, s29
	s_cbranch_execz .LBB11_5
.LBB11_137:
	; divergent unreachable
	s_endpgm
	.section	.rodata,"a",@progbits
	.p2align	6, 0x0
	.amdhsa_kernel _ZN9rocsolver6v33100L15syevx_sort_eigsIffPfEEviPiPT0_lT1_iilS3_lS3_S3_
		.amdhsa_group_segment_fixed_size 0
		.amdhsa_private_segment_fixed_size 64
		.amdhsa_kernarg_size 344
		.amdhsa_user_sgpr_count 14
		.amdhsa_user_sgpr_dispatch_ptr 0
		.amdhsa_user_sgpr_queue_ptr 0
		.amdhsa_user_sgpr_kernarg_segment_ptr 1
		.amdhsa_user_sgpr_dispatch_id 0
		.amdhsa_user_sgpr_private_segment_size 0
		.amdhsa_wavefront_size32 1
		.amdhsa_uses_dynamic_stack 0
		.amdhsa_enable_private_segment 1
		.amdhsa_system_sgpr_workgroup_id_x 1
		.amdhsa_system_sgpr_workgroup_id_y 1
		.amdhsa_system_sgpr_workgroup_id_z 0
		.amdhsa_system_sgpr_workgroup_info 0
		.amdhsa_system_vgpr_workitem_id 2
		.amdhsa_next_free_vgpr 53
		.amdhsa_next_free_sgpr 50
		.amdhsa_reserve_vcc 1
		.amdhsa_float_round_mode_32 0
		.amdhsa_float_round_mode_16_64 0
		.amdhsa_float_denorm_mode_32 3
		.amdhsa_float_denorm_mode_16_64 3
		.amdhsa_dx10_clamp 1
		.amdhsa_ieee_mode 1
		.amdhsa_fp16_overflow 0
		.amdhsa_workgroup_processor_mode 1
		.amdhsa_memory_ordered 1
		.amdhsa_forward_progress 0
		.amdhsa_shared_vgpr_count 0
		.amdhsa_exception_fp_ieee_invalid_op 0
		.amdhsa_exception_fp_denorm_src 0
		.amdhsa_exception_fp_ieee_div_zero 0
		.amdhsa_exception_fp_ieee_overflow 0
		.amdhsa_exception_fp_ieee_underflow 0
		.amdhsa_exception_fp_ieee_inexact 0
		.amdhsa_exception_int_div_zero 0
	.end_amdhsa_kernel
	.section	.text._ZN9rocsolver6v33100L15syevx_sort_eigsIffPfEEviPiPT0_lT1_iilS3_lS3_S3_,"axG",@progbits,_ZN9rocsolver6v33100L15syevx_sort_eigsIffPfEEviPiPT0_lT1_iilS3_lS3_S3_,comdat
.Lfunc_end11:
	.size	_ZN9rocsolver6v33100L15syevx_sort_eigsIffPfEEviPiPT0_lT1_iilS3_lS3_S3_, .Lfunc_end11-_ZN9rocsolver6v33100L15syevx_sort_eigsIffPfEEviPiPT0_lT1_iilS3_lS3_S3_
                                        ; -- End function
	.section	.AMDGPU.csdata,"",@progbits
; Kernel info:
; codeLenInByte = 5312
; NumSgprs: 52
; NumVgprs: 53
; ScratchSize: 64
; MemoryBound: 0
; FloatMode: 240
; IeeeMode: 1
; LDSByteSize: 0 bytes/workgroup (compile time only)
; SGPRBlocks: 6
; VGPRBlocks: 6
; NumSGPRsForWavesPerEU: 52
; NumVGPRsForWavesPerEU: 53
; Occupancy: 16
; WaveLimiterHint : 1
; COMPUTE_PGM_RSRC2:SCRATCH_EN: 1
; COMPUTE_PGM_RSRC2:USER_SGPR: 14
; COMPUTE_PGM_RSRC2:TRAP_HANDLER: 0
; COMPUTE_PGM_RSRC2:TGID_X_EN: 1
; COMPUTE_PGM_RSRC2:TGID_Y_EN: 1
; COMPUTE_PGM_RSRC2:TGID_Z_EN: 0
; COMPUTE_PGM_RSRC2:TIDIG_COMP_CNT: 2
	.section	.text._ZN9rocsolver6v33100L19bdsvdx_reorder_vectIfPfEEv13rocblas_fill_iPiPT_lT0_iilS6_,"axG",@progbits,_ZN9rocsolver6v33100L19bdsvdx_reorder_vectIfPfEEv13rocblas_fill_iPiPT_lT0_iilS6_,comdat
	.globl	_ZN9rocsolver6v33100L19bdsvdx_reorder_vectIfPfEEv13rocblas_fill_iPiPT_lT0_iilS6_ ; -- Begin function _ZN9rocsolver6v33100L19bdsvdx_reorder_vectIfPfEEv13rocblas_fill_iPiPT_lT0_iilS6_
	.p2align	8
	.type	_ZN9rocsolver6v33100L19bdsvdx_reorder_vectIfPfEEv13rocblas_fill_iPiPT_lT0_iilS6_,@function
_ZN9rocsolver6v33100L19bdsvdx_reorder_vectIfPfEEv13rocblas_fill_iPiPT_lT0_iilS6_: ; @_ZN9rocsolver6v33100L19bdsvdx_reorder_vectIfPfEEv13rocblas_fill_iPiPT_lT0_iilS6_
; %bb.0:
	s_load_b256 s[4:11], s[0:1], 0x8
	s_mov_b32 s16, s15
	s_ashr_i32 s17, s15, 31
	s_delay_alu instid0(SALU_CYCLE_1)
	s_lshl_b64 s[2:3], s[16:17], 2
	s_waitcnt lgkmcnt(0)
	s_add_u32 s2, s4, s2
	s_addc_u32 s3, s5, s3
	s_load_b64 s[4:5], s[0:1], 0x0
	s_load_b32 s18, s[2:3], 0x0
	s_waitcnt lgkmcnt(0)
	s_cmp_le_i32 s18, s5
	s_cbranch_scc1 .LBB12_4
; %bb.1:
	s_mov_b32 s12, exec_lo
	v_cmpx_eq_u32_e32 0, v0
	s_cbranch_execz .LBB12_3
; %bb.2:
	v_dual_mov_b32 v1, 0 :: v_dual_mov_b32 v2, s5
	global_store_b32 v1, v2, s[2:3]
.LBB12_3:
	s_or_b32 exec_lo, exec_lo, s12
	s_mov_b32 s18, s5
.LBB12_4:
	s_load_b128 s[12:15], s[0:1], 0x30
	s_mul_i32 s2, s16, s5
	s_delay_alu instid0(SALU_CYCLE_1) | instskip(NEXT) | instid1(SALU_CYCLE_1)
	s_lshl_b32 s2, s2, 1
	s_ashr_i32 s3, s2, 31
	s_delay_alu instid0(SALU_CYCLE_1)
	s_lshl_b64 s[20:21], s[2:3], 2
	s_waitcnt lgkmcnt(0)
	s_add_u32 s3, s14, s20
	s_addc_u32 s14, s15, s21
	s_mov_b32 s15, exec_lo
	v_cmpx_gt_i32_e64 s18, v0
	s_cbranch_execz .LBB12_7
; %bb.5:
	s_load_b32 s2, s[0:1], 0x4c
	s_mul_i32 s9, s16, s9
	s_mul_hi_u32 s19, s16, s8
	s_mul_i32 s20, s17, s8
	s_add_i32 s9, s19, s9
	s_mul_i32 s8, s16, s8
	s_add_i32 s9, s9, s20
	v_mov_b32_e32 v1, v0
	s_lshl_b64 s[8:9], s[8:9], 2
	s_delay_alu instid0(SALU_CYCLE_1)
	s_add_u32 s6, s6, s8
	s_addc_u32 s7, s7, s9
	s_mov_b32 s9, 0
	s_waitcnt lgkmcnt(0)
	s_and_b32 s8, s2, 0xffff
	.p2align	6
.LBB12_6:                               ; =>This Inner Loop Header: Depth=1
	v_ashrrev_i32_e32 v2, 31, v1
	s_delay_alu instid0(VALU_DEP_1) | instskip(SKIP_1) | instid1(VALU_DEP_2)
	v_lshlrev_b64 v[2:3], 2, v[1:2]
	v_add_nc_u32_e32 v1, s8, v1
	v_add_co_u32 v4, vcc_lo, s3, v2
	s_delay_alu instid0(VALU_DEP_3) | instskip(NEXT) | instid1(VALU_DEP_3)
	v_add_co_ci_u32_e32 v5, vcc_lo, s14, v3, vcc_lo
	v_cmp_le_i32_e32 vcc_lo, s18, v1
	v_add_co_u32 v2, s2, s6, v2
	global_load_b32 v4, v[4:5], off
	v_add_co_ci_u32_e64 v3, s2, s7, v3, s2
	s_or_b32 s9, vcc_lo, s9
	s_waitcnt vmcnt(0)
	v_xor_b32_e32 v4, 0x80000000, v4
	global_store_b32 v[2:3], v4, off
	s_and_not1_b32 exec_lo, exec_lo, s9
	s_cbranch_execnz .LBB12_6
.LBB12_7:
	s_or_b32 exec_lo, exec_lo, s15
	s_cmp_lt_i32 s18, 1
	s_waitcnt_vscnt null, 0x0
	s_barrier
	buffer_gl0_inv
	s_cbranch_scc1 .LBB12_23
; %bb.8:
	s_load_b64 s[6:7], s[0:1], 0x28
	s_mul_i32 s2, s16, s13
	s_mul_hi_u32 s8, s16, s12
	s_mul_i32 s9, s17, s12
	s_add_i32 s2, s8, s2
	s_mul_i32 s8, s16, s12
	s_add_i32 s9, s2, s9
	v_cmp_gt_i32_e64 s2, s5, v0
	s_lshl_b64 s[8:9], s[8:9], 2
	v_lshlrev_b32_e32 v3, 1, v0
	s_mov_b32 s15, 0
	s_waitcnt lgkmcnt(0)
	s_ashr_i32 s13, s6, 31
	s_mov_b32 s12, s6
	s_add_u32 s6, s10, s8
	s_addc_u32 s10, s11, s9
	s_lshl_b64 s[8:9], s[12:13], 2
	s_mov_b32 s12, 0
	s_add_u32 s6, s6, s8
	s_addc_u32 s10, s10, s9
	s_lshl_b32 s11, s5, 1
	s_add_u32 s8, s0, 64
	s_addc_u32 s9, s1, 0
	v_cmp_gt_i32_e64 s0, s11, v0
	s_cmpk_lg_i32 s4, 0x79
	s_mov_b32 s13, s5
	s_cselect_b32 s4, -1, 0
	s_branch .LBB12_11
.LBB12_9:                               ;   in Loop: Header=BB12_11 Depth=1
	s_set_inst_prefetch_distance 0x2
	s_or_b32 exec_lo, exec_lo, s16
.LBB12_10:                              ;   in Loop: Header=BB12_11 Depth=1
	s_add_i32 s15, s15, 1
	s_add_i32 s12, s12, s7
	;; [unrolled: 1-line block ×3, first 2 shown]
	s_cmp_lg_u32 s15, s18
	s_waitcnt_vscnt null, 0x0
	s_barrier
	buffer_gl0_inv
	s_cbranch_scc0 .LBB12_23
.LBB12_11:                              ; =>This Loop Header: Depth=1
                                        ;     Child Loop BB12_13 Depth 2
                                        ;     Child Loop BB12_17 Depth 2
	;; [unrolled: 1-line block ×3, first 2 shown]
	s_and_saveexec_b32 s16, s0
	s_cbranch_execz .LBB12_14
; %bb.12:                               ;   in Loop: Header=BB12_11 Depth=1
	s_load_b32 s1, s[8:9], 0xc
	v_mov_b32_e32 v1, v0
	s_mov_b32 s19, 0
	s_waitcnt lgkmcnt(0)
	s_and_b32 s17, s1, 0xffff
	.p2align	6
.LBB12_13:                              ;   Parent Loop BB12_11 Depth=1
                                        ; =>  This Inner Loop Header: Depth=2
	s_delay_alu instid0(VALU_DEP_1) | instskip(SKIP_1) | instid1(VALU_DEP_2)
	v_add_nc_u32_e32 v4, s12, v1
	v_ashrrev_i32_e32 v2, 31, v1
	v_ashrrev_i32_e32 v5, 31, v4
	s_delay_alu instid0(VALU_DEP_1) | instskip(NEXT) | instid1(VALU_DEP_1)
	v_lshlrev_b64 v[4:5], 2, v[4:5]
	v_add_co_u32 v4, vcc_lo, s6, v4
	s_delay_alu instid0(VALU_DEP_2) | instskip(SKIP_3) | instid1(VALU_DEP_1)
	v_add_co_ci_u32_e32 v5, vcc_lo, s10, v5, vcc_lo
	global_load_b32 v6, v[4:5], off
	v_lshlrev_b64 v[4:5], 2, v[1:2]
	v_add_nc_u32_e32 v1, s17, v1
	v_cmp_le_i32_e32 vcc_lo, s11, v1
	s_delay_alu instid0(VALU_DEP_3) | instskip(NEXT) | instid1(VALU_DEP_1)
	v_add_co_u32 v4, s1, s3, v4
	v_add_co_ci_u32_e64 v5, s1, s14, v5, s1
	s_or_b32 s19, vcc_lo, s19
	s_waitcnt vmcnt(0)
	global_store_b32 v[4:5], v6, off
	s_and_not1_b32 exec_lo, exec_lo, s19
	s_cbranch_execnz .LBB12_13
.LBB12_14:                              ;   in Loop: Header=BB12_11 Depth=1
	s_or_b32 exec_lo, exec_lo, s16
	s_delay_alu instid0(SALU_CYCLE_1)
	s_and_not1_b32 vcc_lo, exec_lo, s4
	s_mov_b32 s1, -1
	s_waitcnt_vscnt null, 0x0
	s_barrier
	buffer_gl0_inv
	s_cbranch_vccnz .LBB12_19
; %bb.15:                               ;   in Loop: Header=BB12_11 Depth=1
	s_and_saveexec_b32 s16, s2
	s_cbranch_execz .LBB12_18
; %bb.16:                               ;   in Loop: Header=BB12_11 Depth=1
	s_load_b32 s1, s[8:9], 0xc
	v_dual_mov_b32 v1, v3 :: v_dual_mov_b32 v4, v0
	s_mov_b32 s20, 0
	s_waitcnt lgkmcnt(0)
	s_and_b32 s17, s1, 0xffff
	s_delay_alu instid0(SALU_CYCLE_1)
	s_lshl_b32 s19, s17, 1
	s_set_inst_prefetch_distance 0x1
	.p2align	6
.LBB12_17:                              ;   Parent Loop BB12_11 Depth=1
                                        ; =>  This Inner Loop Header: Depth=2
	v_ashrrev_i32_e32 v2, 31, v1
	s_delay_alu instid0(VALU_DEP_1) | instskip(SKIP_1) | instid1(VALU_DEP_2)
	v_lshlrev_b64 v[5:6], 2, v[1:2]
	v_add_nc_u32_e32 v1, s19, v1
	v_add_co_u32 v5, vcc_lo, s3, v5
	s_delay_alu instid0(VALU_DEP_3) | instskip(SKIP_3) | instid1(VALU_DEP_1)
	v_add_co_ci_u32_e32 v6, vcc_lo, s14, v6, vcc_lo
	global_load_b32 v2, v[5:6], off
	s_waitcnt vmcnt(0)
	v_dual_mul_f32 v2, 0x3fb504f3, v2 :: v_dual_add_nc_u32 v7, s12, v4
	v_ashrrev_i32_e32 v8, 31, v7
	s_delay_alu instid0(VALU_DEP_1) | instskip(NEXT) | instid1(VALU_DEP_1)
	v_lshlrev_b64 v[7:8], 2, v[7:8]
	v_add_co_u32 v7, vcc_lo, s6, v7
	s_delay_alu instid0(VALU_DEP_2) | instskip(SKIP_4) | instid1(VALU_DEP_1)
	v_add_co_ci_u32_e32 v8, vcc_lo, s10, v8, vcc_lo
	global_store_b32 v[7:8], v2, off
	global_load_b32 v2, v[5:6], off offset:4
	v_add_nc_u32_e32 v5, s13, v4
	v_add_nc_u32_e32 v4, s17, v4
	v_cmp_le_i32_e32 vcc_lo, s5, v4
	s_or_b32 s20, vcc_lo, s20
	s_waitcnt vmcnt(0)
	v_mul_f32_e32 v2, 0xbfb504f3, v2
	v_ashrrev_i32_e32 v6, 31, v5
	s_delay_alu instid0(VALU_DEP_1) | instskip(NEXT) | instid1(VALU_DEP_1)
	v_lshlrev_b64 v[5:6], 2, v[5:6]
	v_add_co_u32 v5, s1, s6, v5
	s_delay_alu instid0(VALU_DEP_1)
	v_add_co_ci_u32_e64 v6, s1, s10, v6, s1
	global_store_b32 v[5:6], v2, off
	s_and_not1_b32 exec_lo, exec_lo, s20
	s_cbranch_execnz .LBB12_17
.LBB12_18:                              ;   in Loop: Header=BB12_11 Depth=1
	s_set_inst_prefetch_distance 0x2
	s_or_b32 exec_lo, exec_lo, s16
	s_mov_b32 s1, 0
.LBB12_19:                              ;   in Loop: Header=BB12_11 Depth=1
	s_delay_alu instid0(SALU_CYCLE_1)
	s_and_not1_b32 vcc_lo, exec_lo, s1
	s_cbranch_vccnz .LBB12_10
; %bb.20:                               ;   in Loop: Header=BB12_11 Depth=1
	s_and_saveexec_b32 s16, s2
	s_cbranch_execz .LBB12_9
; %bb.21:                               ;   in Loop: Header=BB12_11 Depth=1
	s_load_b32 s1, s[8:9], 0xc
	v_dual_mov_b32 v1, v3 :: v_dual_mov_b32 v4, v0
	s_mov_b32 s20, 0
	s_waitcnt lgkmcnt(0)
	s_and_b32 s17, s1, 0xffff
	s_delay_alu instid0(SALU_CYCLE_1)
	s_lshl_b32 s19, s17, 1
	s_set_inst_prefetch_distance 0x1
	.p2align	6
.LBB12_22:                              ;   Parent Loop BB12_11 Depth=1
                                        ; =>  This Inner Loop Header: Depth=2
	v_ashrrev_i32_e32 v2, 31, v1
	s_delay_alu instid0(VALU_DEP_1) | instskip(SKIP_1) | instid1(VALU_DEP_2)
	v_lshlrev_b64 v[5:6], 2, v[1:2]
	v_add_nc_u32_e32 v1, s19, v1
	v_add_co_u32 v5, vcc_lo, s3, v5
	s_delay_alu instid0(VALU_DEP_3) | instskip(SKIP_3) | instid1(VALU_DEP_1)
	v_add_co_ci_u32_e32 v6, vcc_lo, s14, v6, vcc_lo
	global_load_b32 v2, v[5:6], off offset:4
	s_waitcnt vmcnt(0)
	v_dual_mul_f32 v2, 0x3fb504f3, v2 :: v_dual_add_nc_u32 v7, s12, v4
	v_ashrrev_i32_e32 v8, 31, v7
	s_delay_alu instid0(VALU_DEP_1) | instskip(NEXT) | instid1(VALU_DEP_1)
	v_lshlrev_b64 v[7:8], 2, v[7:8]
	v_add_co_u32 v7, vcc_lo, s6, v7
	s_delay_alu instid0(VALU_DEP_2) | instskip(SKIP_4) | instid1(VALU_DEP_1)
	v_add_co_ci_u32_e32 v8, vcc_lo, s10, v8, vcc_lo
	global_store_b32 v[7:8], v2, off
	global_load_b32 v2, v[5:6], off
	v_add_nc_u32_e32 v5, s13, v4
	v_add_nc_u32_e32 v4, s17, v4
	v_cmp_le_i32_e32 vcc_lo, s5, v4
	s_or_b32 s20, vcc_lo, s20
	s_waitcnt vmcnt(0)
	v_mul_f32_e32 v2, 0xbfb504f3, v2
	v_ashrrev_i32_e32 v6, 31, v5
	s_delay_alu instid0(VALU_DEP_1) | instskip(NEXT) | instid1(VALU_DEP_1)
	v_lshlrev_b64 v[5:6], 2, v[5:6]
	v_add_co_u32 v5, s1, s6, v5
	s_delay_alu instid0(VALU_DEP_1)
	v_add_co_ci_u32_e64 v6, s1, s10, v6, s1
	global_store_b32 v[5:6], v2, off
	s_and_not1_b32 exec_lo, exec_lo, s20
	s_cbranch_execnz .LBB12_22
	s_branch .LBB12_9
.LBB12_23:
	s_endpgm
	.section	.rodata,"a",@progbits
	.p2align	6, 0x0
	.amdhsa_kernel _ZN9rocsolver6v33100L19bdsvdx_reorder_vectIfPfEEv13rocblas_fill_iPiPT_lT0_iilS6_
		.amdhsa_group_segment_fixed_size 0
		.amdhsa_private_segment_fixed_size 0
		.amdhsa_kernarg_size 320
		.amdhsa_user_sgpr_count 14
		.amdhsa_user_sgpr_dispatch_ptr 0
		.amdhsa_user_sgpr_queue_ptr 0
		.amdhsa_user_sgpr_kernarg_segment_ptr 1
		.amdhsa_user_sgpr_dispatch_id 0
		.amdhsa_user_sgpr_private_segment_size 0
		.amdhsa_wavefront_size32 1
		.amdhsa_uses_dynamic_stack 0
		.amdhsa_enable_private_segment 0
		.amdhsa_system_sgpr_workgroup_id_x 1
		.amdhsa_system_sgpr_workgroup_id_y 1
		.amdhsa_system_sgpr_workgroup_id_z 0
		.amdhsa_system_sgpr_workgroup_info 0
		.amdhsa_system_vgpr_workitem_id 0
		.amdhsa_next_free_vgpr 9
		.amdhsa_next_free_sgpr 22
		.amdhsa_reserve_vcc 1
		.amdhsa_float_round_mode_32 0
		.amdhsa_float_round_mode_16_64 0
		.amdhsa_float_denorm_mode_32 3
		.amdhsa_float_denorm_mode_16_64 3
		.amdhsa_dx10_clamp 1
		.amdhsa_ieee_mode 1
		.amdhsa_fp16_overflow 0
		.amdhsa_workgroup_processor_mode 1
		.amdhsa_memory_ordered 1
		.amdhsa_forward_progress 0
		.amdhsa_shared_vgpr_count 0
		.amdhsa_exception_fp_ieee_invalid_op 0
		.amdhsa_exception_fp_denorm_src 0
		.amdhsa_exception_fp_ieee_div_zero 0
		.amdhsa_exception_fp_ieee_overflow 0
		.amdhsa_exception_fp_ieee_underflow 0
		.amdhsa_exception_fp_ieee_inexact 0
		.amdhsa_exception_int_div_zero 0
	.end_amdhsa_kernel
	.section	.text._ZN9rocsolver6v33100L19bdsvdx_reorder_vectIfPfEEv13rocblas_fill_iPiPT_lT0_iilS6_,"axG",@progbits,_ZN9rocsolver6v33100L19bdsvdx_reorder_vectIfPfEEv13rocblas_fill_iPiPT_lT0_iilS6_,comdat
.Lfunc_end12:
	.size	_ZN9rocsolver6v33100L19bdsvdx_reorder_vectIfPfEEv13rocblas_fill_iPiPT_lT0_iilS6_, .Lfunc_end12-_ZN9rocsolver6v33100L19bdsvdx_reorder_vectIfPfEEv13rocblas_fill_iPiPT_lT0_iilS6_
                                        ; -- End function
	.section	.AMDGPU.csdata,"",@progbits
; Kernel info:
; codeLenInByte = 1216
; NumSgprs: 24
; NumVgprs: 9
; ScratchSize: 0
; MemoryBound: 0
; FloatMode: 240
; IeeeMode: 1
; LDSByteSize: 0 bytes/workgroup (compile time only)
; SGPRBlocks: 2
; VGPRBlocks: 1
; NumSGPRsForWavesPerEU: 24
; NumVGPRsForWavesPerEU: 9
; Occupancy: 16
; WaveLimiterHint : 0
; COMPUTE_PGM_RSRC2:SCRATCH_EN: 0
; COMPUTE_PGM_RSRC2:USER_SGPR: 14
; COMPUTE_PGM_RSRC2:TRAP_HANDLER: 0
; COMPUTE_PGM_RSRC2:TGID_X_EN: 1
; COMPUTE_PGM_RSRC2:TGID_Y_EN: 1
; COMPUTE_PGM_RSRC2:TGID_Z_EN: 0
; COMPUTE_PGM_RSRC2:TIDIG_COMP_CNT: 0
	.section	.text._ZN9rocsolver6v33100L10reset_infoIdiiEEvPT_T0_T1_S4_,"axG",@progbits,_ZN9rocsolver6v33100L10reset_infoIdiiEEvPT_T0_T1_S4_,comdat
	.globl	_ZN9rocsolver6v33100L10reset_infoIdiiEEvPT_T0_T1_S4_ ; -- Begin function _ZN9rocsolver6v33100L10reset_infoIdiiEEvPT_T0_T1_S4_
	.p2align	8
	.type	_ZN9rocsolver6v33100L10reset_infoIdiiEEvPT_T0_T1_S4_,@function
_ZN9rocsolver6v33100L10reset_infoIdiiEEvPT_T0_T1_S4_: ; @_ZN9rocsolver6v33100L10reset_infoIdiiEEvPT_T0_T1_S4_
; %bb.0:
	s_clause 0x1
	s_load_b32 s2, s[0:1], 0x24
	s_load_b128 s[4:7], s[0:1], 0x8
	s_waitcnt lgkmcnt(0)
	s_and_b32 s2, s2, 0xffff
	s_delay_alu instid0(SALU_CYCLE_1) | instskip(SKIP_1) | instid1(VALU_DEP_1)
	v_mad_u64_u32 v[1:2], null, s15, s2, v[0:1]
	s_mov_b32 s2, exec_lo
	v_cmpx_gt_i32_e64 s4, v1
	s_cbranch_execz .LBB13_2
; %bb.1:
	v_mul_lo_u32 v0, v1, s6
	v_cvt_f64_i32_e32 v[2:3], s5
	s_load_b64 s[0:1], s[0:1], 0x0
	s_delay_alu instid0(VALU_DEP_2) | instskip(NEXT) | instid1(VALU_DEP_1)
	v_cvt_f64_i32_e32 v[4:5], v0
	v_add_f64 v[3:4], v[2:3], v[4:5]
	v_ashrrev_i32_e32 v2, 31, v1
	s_delay_alu instid0(VALU_DEP_1) | instskip(SKIP_1) | instid1(VALU_DEP_1)
	v_lshlrev_b64 v[0:1], 3, v[1:2]
	s_waitcnt lgkmcnt(0)
	v_add_co_u32 v0, vcc_lo, s0, v0
	s_delay_alu instid0(VALU_DEP_2)
	v_add_co_ci_u32_e32 v1, vcc_lo, s1, v1, vcc_lo
	global_store_b64 v[0:1], v[3:4], off
.LBB13_2:
	s_nop 0
	s_sendmsg sendmsg(MSG_DEALLOC_VGPRS)
	s_endpgm
	.section	.rodata,"a",@progbits
	.p2align	6, 0x0
	.amdhsa_kernel _ZN9rocsolver6v33100L10reset_infoIdiiEEvPT_T0_T1_S4_
		.amdhsa_group_segment_fixed_size 0
		.amdhsa_private_segment_fixed_size 0
		.amdhsa_kernarg_size 280
		.amdhsa_user_sgpr_count 15
		.amdhsa_user_sgpr_dispatch_ptr 0
		.amdhsa_user_sgpr_queue_ptr 0
		.amdhsa_user_sgpr_kernarg_segment_ptr 1
		.amdhsa_user_sgpr_dispatch_id 0
		.amdhsa_user_sgpr_private_segment_size 0
		.amdhsa_wavefront_size32 1
		.amdhsa_uses_dynamic_stack 0
		.amdhsa_enable_private_segment 0
		.amdhsa_system_sgpr_workgroup_id_x 1
		.amdhsa_system_sgpr_workgroup_id_y 0
		.amdhsa_system_sgpr_workgroup_id_z 0
		.amdhsa_system_sgpr_workgroup_info 0
		.amdhsa_system_vgpr_workitem_id 0
		.amdhsa_next_free_vgpr 6
		.amdhsa_next_free_sgpr 16
		.amdhsa_reserve_vcc 1
		.amdhsa_float_round_mode_32 0
		.amdhsa_float_round_mode_16_64 0
		.amdhsa_float_denorm_mode_32 3
		.amdhsa_float_denorm_mode_16_64 3
		.amdhsa_dx10_clamp 1
		.amdhsa_ieee_mode 1
		.amdhsa_fp16_overflow 0
		.amdhsa_workgroup_processor_mode 1
		.amdhsa_memory_ordered 1
		.amdhsa_forward_progress 0
		.amdhsa_shared_vgpr_count 0
		.amdhsa_exception_fp_ieee_invalid_op 0
		.amdhsa_exception_fp_denorm_src 0
		.amdhsa_exception_fp_ieee_div_zero 0
		.amdhsa_exception_fp_ieee_overflow 0
		.amdhsa_exception_fp_ieee_underflow 0
		.amdhsa_exception_fp_ieee_inexact 0
		.amdhsa_exception_int_div_zero 0
	.end_amdhsa_kernel
	.section	.text._ZN9rocsolver6v33100L10reset_infoIdiiEEvPT_T0_T1_S4_,"axG",@progbits,_ZN9rocsolver6v33100L10reset_infoIdiiEEvPT_T0_T1_S4_,comdat
.Lfunc_end13:
	.size	_ZN9rocsolver6v33100L10reset_infoIdiiEEvPT_T0_T1_S4_, .Lfunc_end13-_ZN9rocsolver6v33100L10reset_infoIdiiEEvPT_T0_T1_S4_
                                        ; -- End function
	.section	.AMDGPU.csdata,"",@progbits
; Kernel info:
; codeLenInByte = 152
; NumSgprs: 18
; NumVgprs: 6
; ScratchSize: 0
; MemoryBound: 0
; FloatMode: 240
; IeeeMode: 1
; LDSByteSize: 0 bytes/workgroup (compile time only)
; SGPRBlocks: 2
; VGPRBlocks: 0
; NumSGPRsForWavesPerEU: 18
; NumVGPRsForWavesPerEU: 6
; Occupancy: 16
; WaveLimiterHint : 0
; COMPUTE_PGM_RSRC2:SCRATCH_EN: 0
; COMPUTE_PGM_RSRC2:USER_SGPR: 15
; COMPUTE_PGM_RSRC2:TRAP_HANDLER: 0
; COMPUTE_PGM_RSRC2:TGID_X_EN: 1
; COMPUTE_PGM_RSRC2:TGID_Y_EN: 0
; COMPUTE_PGM_RSRC2:TGID_Z_EN: 0
; COMPUTE_PGM_RSRC2:TIDIG_COMP_CNT: 0
	.section	.text._ZN9rocsolver6v33100L8copy_matIdPdS2_NS0_7no_maskEEEviiT0_iilT1_iilT2_13rocblas_fill_17rocblas_diagonal_,"axG",@progbits,_ZN9rocsolver6v33100L8copy_matIdPdS2_NS0_7no_maskEEEviiT0_iilT1_iilT2_13rocblas_fill_17rocblas_diagonal_,comdat
	.globl	_ZN9rocsolver6v33100L8copy_matIdPdS2_NS0_7no_maskEEEviiT0_iilT1_iilT2_13rocblas_fill_17rocblas_diagonal_ ; -- Begin function _ZN9rocsolver6v33100L8copy_matIdPdS2_NS0_7no_maskEEEviiT0_iilT1_iilT2_13rocblas_fill_17rocblas_diagonal_
	.p2align	8
	.type	_ZN9rocsolver6v33100L8copy_matIdPdS2_NS0_7no_maskEEEviiT0_iilT1_iilT2_13rocblas_fill_17rocblas_diagonal_,@function
_ZN9rocsolver6v33100L8copy_matIdPdS2_NS0_7no_maskEEEviiT0_iilT1_iilT2_13rocblas_fill_17rocblas_diagonal_: ; @_ZN9rocsolver6v33100L8copy_matIdPdS2_NS0_7no_maskEEEviiT0_iilT1_iilT2_13rocblas_fill_17rocblas_diagonal_
; %bb.0:
	s_clause 0x1
	s_load_b32 s4, s[0:1], 0x54
	s_load_b64 s[2:3], s[0:1], 0x0
	v_and_b32_e32 v2, 0x3ff, v0
	v_bfe_u32 v3, v0, 10, 10
	s_waitcnt lgkmcnt(0)
	s_lshr_b32 s5, s4, 16
	s_and_b32 s4, s4, 0xffff
	s_delay_alu instid0(VALU_DEP_1) | instid1(SALU_CYCLE_1)
	v_mad_u64_u32 v[0:1], null, s13, s4, v[2:3]
	v_mad_u64_u32 v[1:2], null, s14, s5, v[3:4]
	s_delay_alu instid0(VALU_DEP_2) | instskip(NEXT) | instid1(VALU_DEP_2)
	v_cmp_gt_u32_e32 vcc_lo, s2, v0
	v_cmp_gt_u32_e64 s2, s3, v1
	s_delay_alu instid0(VALU_DEP_1) | instskip(NEXT) | instid1(SALU_CYCLE_1)
	s_and_b32 s2, s2, vcc_lo
	s_and_saveexec_b32 s3, s2
	s_cbranch_execz .LBB14_14
; %bb.1:
	s_load_b64 s[4:5], s[0:1], 0x3c
	s_waitcnt lgkmcnt(0)
	s_cmpk_lt_i32 s4, 0x7a
	s_cbranch_scc1 .LBB14_4
; %bb.2:
	s_cmpk_gt_i32 s4, 0x7a
	s_cbranch_scc0 .LBB14_5
; %bb.3:
	s_cmpk_lg_i32 s4, 0x7b
	s_mov_b32 s3, -1
	s_cselect_b32 s6, -1, 0
	s_cbranch_execz .LBB14_6
	s_branch .LBB14_7
.LBB14_4:
	s_mov_b32 s6, 0
	s_mov_b32 s3, 0
	s_cbranch_execnz .LBB14_8
	s_branch .LBB14_10
.LBB14_5:
	s_mov_b32 s3, 0
	s_mov_b32 s6, 0
.LBB14_6:
	v_cmp_gt_u32_e32 vcc_lo, v0, v1
	v_cmp_le_u32_e64 s2, v0, v1
	s_and_not1_b32 s3, s3, exec_lo
	s_and_not1_b32 s6, s6, exec_lo
	s_and_b32 s7, vcc_lo, exec_lo
	s_delay_alu instid0(VALU_DEP_1)
	s_and_b32 s2, s2, exec_lo
	s_or_b32 s3, s3, s7
	s_or_b32 s6, s6, s2
.LBB14_7:
	s_branch .LBB14_10
.LBB14_8:
	s_cmpk_eq_i32 s4, 0x79
	s_mov_b32 s6, -1
	s_cbranch_scc0 .LBB14_10
; %bb.9:
	v_cmp_gt_u32_e32 vcc_lo, v1, v0
	v_cmp_le_u32_e64 s2, v1, v0
	s_and_not1_b32 s3, s3, exec_lo
	s_and_b32 s4, vcc_lo, exec_lo
	s_delay_alu instid0(VALU_DEP_1)
	s_or_not1_b32 s6, s2, exec_lo
	s_or_b32 s3, s3, s4
.LBB14_10:
	s_and_saveexec_b32 s2, s6
; %bb.11:
	v_cmp_eq_u32_e32 vcc_lo, v0, v1
	s_cmpk_eq_i32 s5, 0x83
	s_cselect_b32 s4, -1, 0
	s_and_not1_b32 s3, s3, exec_lo
	s_and_b32 s4, s4, vcc_lo
	s_delay_alu instid0(SALU_CYCLE_1) | instskip(NEXT) | instid1(SALU_CYCLE_1)
	s_and_b32 s4, s4, exec_lo
	s_or_b32 s3, s3, s4
; %bb.12:
	s_or_b32 exec_lo, exec_lo, s2
	s_delay_alu instid0(SALU_CYCLE_1)
	s_and_b32 exec_lo, exec_lo, s3
	s_cbranch_execz .LBB14_14
; %bb.13:
	s_load_b256 s[4:11], s[0:1], 0x8
	s_waitcnt lgkmcnt(0)
	v_mad_u64_u32 v[2:3], null, v1, s7, v[0:1]
	s_mul_i32 s2, s15, s9
	s_mul_hi_u32 s9, s15, s8
	v_mov_b32_e32 v3, 0
	s_mul_i32 s8, s15, s8
	s_add_i32 s9, s9, s2
	s_ashr_i32 s3, s6, 31
	s_lshl_b64 s[8:9], s[8:9], 3
	s_mov_b32 s2, s6
	v_lshlrev_b64 v[4:5], 3, v[2:3]
	s_add_u32 s4, s4, s8
	s_addc_u32 s5, s5, s9
	s_lshl_b64 s[2:3], s[2:3], 3
	s_delay_alu instid0(SALU_CYCLE_1)
	s_add_u32 s2, s4, s2
	s_addc_u32 s3, s5, s3
	v_add_co_u32 v4, vcc_lo, s2, v4
	v_add_co_ci_u32_e32 v5, vcc_lo, s3, v5, vcc_lo
	s_load_b128 s[0:3], s[0:1], 0x28
	global_load_b64 v[4:5], v[4:5], off
	s_waitcnt lgkmcnt(0)
	v_mad_u64_u32 v[6:7], null, v1, s1, v[0:1]
	s_mul_i32 s3, s15, s3
	s_mul_hi_u32 s4, s15, s2
	v_mov_b32_e32 v7, v3
	s_add_i32 s3, s4, s3
	s_mul_i32 s2, s15, s2
	s_ashr_i32 s5, s0, 31
	s_lshl_b64 s[2:3], s[2:3], 3
	s_mov_b32 s4, s0
	v_lshlrev_b64 v[0:1], 3, v[6:7]
	s_add_u32 s2, s10, s2
	s_addc_u32 s3, s11, s3
	s_lshl_b64 s[0:1], s[4:5], 3
	s_delay_alu instid0(SALU_CYCLE_1)
	s_add_u32 s0, s2, s0
	s_addc_u32 s1, s3, s1
	v_add_co_u32 v0, vcc_lo, s0, v0
	v_add_co_ci_u32_e32 v1, vcc_lo, s1, v1, vcc_lo
	s_waitcnt vmcnt(0)
	global_store_b64 v[0:1], v[4:5], off
.LBB14_14:
	s_nop 0
	s_sendmsg sendmsg(MSG_DEALLOC_VGPRS)
	s_endpgm
	.section	.rodata,"a",@progbits
	.p2align	6, 0x0
	.amdhsa_kernel _ZN9rocsolver6v33100L8copy_matIdPdS2_NS0_7no_maskEEEviiT0_iilT1_iilT2_13rocblas_fill_17rocblas_diagonal_
		.amdhsa_group_segment_fixed_size 0
		.amdhsa_private_segment_fixed_size 0
		.amdhsa_kernarg_size 328
		.amdhsa_user_sgpr_count 13
		.amdhsa_user_sgpr_dispatch_ptr 0
		.amdhsa_user_sgpr_queue_ptr 0
		.amdhsa_user_sgpr_kernarg_segment_ptr 1
		.amdhsa_user_sgpr_dispatch_id 0
		.amdhsa_user_sgpr_private_segment_size 0
		.amdhsa_wavefront_size32 1
		.amdhsa_uses_dynamic_stack 0
		.amdhsa_enable_private_segment 0
		.amdhsa_system_sgpr_workgroup_id_x 1
		.amdhsa_system_sgpr_workgroup_id_y 1
		.amdhsa_system_sgpr_workgroup_id_z 1
		.amdhsa_system_sgpr_workgroup_info 0
		.amdhsa_system_vgpr_workitem_id 1
		.amdhsa_next_free_vgpr 8
		.amdhsa_next_free_sgpr 16
		.amdhsa_reserve_vcc 1
		.amdhsa_float_round_mode_32 0
		.amdhsa_float_round_mode_16_64 0
		.amdhsa_float_denorm_mode_32 3
		.amdhsa_float_denorm_mode_16_64 3
		.amdhsa_dx10_clamp 1
		.amdhsa_ieee_mode 1
		.amdhsa_fp16_overflow 0
		.amdhsa_workgroup_processor_mode 1
		.amdhsa_memory_ordered 1
		.amdhsa_forward_progress 0
		.amdhsa_shared_vgpr_count 0
		.amdhsa_exception_fp_ieee_invalid_op 0
		.amdhsa_exception_fp_denorm_src 0
		.amdhsa_exception_fp_ieee_div_zero 0
		.amdhsa_exception_fp_ieee_overflow 0
		.amdhsa_exception_fp_ieee_underflow 0
		.amdhsa_exception_fp_ieee_inexact 0
		.amdhsa_exception_int_div_zero 0
	.end_amdhsa_kernel
	.section	.text._ZN9rocsolver6v33100L8copy_matIdPdS2_NS0_7no_maskEEEviiT0_iilT1_iilT2_13rocblas_fill_17rocblas_diagonal_,"axG",@progbits,_ZN9rocsolver6v33100L8copy_matIdPdS2_NS0_7no_maskEEEviiT0_iilT1_iilT2_13rocblas_fill_17rocblas_diagonal_,comdat
.Lfunc_end14:
	.size	_ZN9rocsolver6v33100L8copy_matIdPdS2_NS0_7no_maskEEEviiT0_iilT1_iilT2_13rocblas_fill_17rocblas_diagonal_, .Lfunc_end14-_ZN9rocsolver6v33100L8copy_matIdPdS2_NS0_7no_maskEEEviiT0_iilT1_iilT2_13rocblas_fill_17rocblas_diagonal_
                                        ; -- End function
	.section	.AMDGPU.csdata,"",@progbits
; Kernel info:
; codeLenInByte = 540
; NumSgprs: 18
; NumVgprs: 8
; ScratchSize: 0
; MemoryBound: 0
; FloatMode: 240
; IeeeMode: 1
; LDSByteSize: 0 bytes/workgroup (compile time only)
; SGPRBlocks: 2
; VGPRBlocks: 0
; NumSGPRsForWavesPerEU: 18
; NumVGPRsForWavesPerEU: 8
; Occupancy: 16
; WaveLimiterHint : 0
; COMPUTE_PGM_RSRC2:SCRATCH_EN: 0
; COMPUTE_PGM_RSRC2:USER_SGPR: 13
; COMPUTE_PGM_RSRC2:TRAP_HANDLER: 0
; COMPUTE_PGM_RSRC2:TGID_X_EN: 1
; COMPUTE_PGM_RSRC2:TGID_Y_EN: 1
; COMPUTE_PGM_RSRC2:TGID_Z_EN: 1
; COMPUTE_PGM_RSRC2:TIDIG_COMP_CNT: 1
	.section	.text._ZN9rocsolver6v33100L18stebz_case1_kernelIdPdEEv15rocblas_erange_T_S4_T0_ilPiS6_PS4_lS6_lS6_li,"axG",@progbits,_ZN9rocsolver6v33100L18stebz_case1_kernelIdPdEEv15rocblas_erange_T_S4_T0_ilPiS6_PS4_lS6_lS6_li,comdat
	.globl	_ZN9rocsolver6v33100L18stebz_case1_kernelIdPdEEv15rocblas_erange_T_S4_T0_ilPiS6_PS4_lS6_lS6_li ; -- Begin function _ZN9rocsolver6v33100L18stebz_case1_kernelIdPdEEv15rocblas_erange_T_S4_T0_ilPiS6_PS4_lS6_lS6_li
	.p2align	8
	.type	_ZN9rocsolver6v33100L18stebz_case1_kernelIdPdEEv15rocblas_erange_T_S4_T0_ilPiS6_PS4_lS6_lS6_li,@function
_ZN9rocsolver6v33100L18stebz_case1_kernelIdPdEEv15rocblas_erange_T_S4_T0_ilPiS6_PS4_lS6_lS6_li: ; @_ZN9rocsolver6v33100L18stebz_case1_kernelIdPdEEv15rocblas_erange_T_S4_T0_ilPiS6_PS4_lS6_lS6_li
; %bb.0:
	s_clause 0x1
	s_load_b32 s2, s[0:1], 0x84
	s_load_b32 s3, s[0:1], 0x70
	s_waitcnt lgkmcnt(0)
	s_and_b32 s2, s2, 0xffff
	s_delay_alu instid0(SALU_CYCLE_1) | instskip(SKIP_1) | instid1(VALU_DEP_1)
	v_mad_u64_u32 v[1:2], null, s15, s2, v[0:1]
	s_mov_b32 s2, exec_lo
	v_cmpx_gt_i32_e64 s3, v1
	s_cbranch_execz .LBB15_7
; %bb.1:
	s_clause 0x1
	s_load_b512 s[4:19], s[0:1], 0x28
	s_load_b32 s2, s[0:1], 0x20
	v_ashrrev_i32_e32 v2, 31, v1
	s_load_b64 s[20:21], s[0:1], 0x18
	s_waitcnt lgkmcnt(0)
	v_mul_lo_u32 v0, v1, s5
	s_delay_alu instid0(VALU_DEP_2) | instskip(SKIP_2) | instid1(SALU_CYCLE_1)
	v_mul_lo_u32 v5, v2, s4
	v_mad_u64_u32 v[3:4], null, v1, s4, 0
	s_ashr_i32 s3, s2, 31
	s_lshl_b64 s[2:3], s[2:3], 3
	s_delay_alu instid0(SALU_CYCLE_1) | instskip(SKIP_1) | instid1(VALU_DEP_1)
	s_add_u32 s2, s2, s20
	s_addc_u32 s3, s3, s21
	v_add3_u32 v4, v4, v0, v5
	s_delay_alu instid0(VALU_DEP_1) | instskip(NEXT) | instid1(VALU_DEP_1)
	v_lshlrev_b64 v[3:4], 3, v[3:4]
	v_add_co_u32 v3, vcc_lo, s2, v3
	s_delay_alu instid0(VALU_DEP_2)
	v_add_co_ci_u32_e32 v4, vcc_lo, s3, v4, vcc_lo
	s_load_b64 s[2:3], s[0:1], 0x68
	global_load_b64 v[5:6], v[3:4], off
	s_waitcnt lgkmcnt(0)
	v_mul_lo_u32 v0, v1, s3
	v_mul_lo_u32 v3, v2, s2
	v_mad_u64_u32 v[7:8], null, v1, s2, 0
	s_load_b32 s2, s[0:1], 0x0
	s_delay_alu instid0(VALU_DEP_1) | instskip(SKIP_2) | instid1(VALU_DEP_3)
	v_add3_u32 v8, v8, v0, v3
	v_lshlrev_b64 v[3:4], 2, v[1:2]
	v_mov_b32_e32 v0, 1
	v_lshlrev_b64 v[7:8], 2, v[7:8]
	s_delay_alu instid0(VALU_DEP_3) | instskip(NEXT) | instid1(VALU_DEP_4)
	v_add_co_u32 v9, vcc_lo, s8, v3
	v_add_co_ci_u32_e32 v10, vcc_lo, s9, v4, vcc_lo
	s_delay_alu instid0(VALU_DEP_3) | instskip(NEXT) | instid1(VALU_DEP_4)
	v_add_co_u32 v7, vcc_lo, s18, v7
	v_add_co_ci_u32_e32 v8, vcc_lo, s19, v8, vcc_lo
	s_waitcnt lgkmcnt(0)
	s_cmpk_lg_i32 s2, 0xe8
	global_store_b32 v[9:10], v0, off
	s_cselect_b32 s2, -1, 0
	global_store_b32 v[7:8], v0, off
	s_and_b32 vcc_lo, exec_lo, s2
	s_cbranch_vccnz .LBB15_3
; %bb.2:
	s_load_b128 s[20:23], s[0:1], 0x8
	s_and_not1_b32 s1, s2, exec_lo
	s_waitcnt vmcnt(0) lgkmcnt(0)
	v_cmp_nge_f64_e32 vcc_lo, s[20:21], v[5:6]
	v_cmp_nlt_f64_e64 s0, s[22:23], v[5:6]
	s_delay_alu instid0(VALU_DEP_1) | instskip(NEXT) | instid1(SALU_CYCLE_1)
	s_and_b32 s0, vcc_lo, s0
	s_and_b32 s2, s0, exec_lo
	s_mov_b32 s0, -1
	s_or_b32 s2, s1, s2
	s_delay_alu instid0(SALU_CYCLE_1) | instskip(NEXT) | instid1(SALU_CYCLE_1)
	s_and_saveexec_b32 s1, s2
	s_xor_b32 s1, exec_lo, s1
	s_cbranch_execnz .LBB15_4
	s_branch .LBB15_5
.LBB15_3:
	s_mov_b32 s0, 0
	s_and_saveexec_b32 s1, s2
	s_delay_alu instid0(SALU_CYCLE_1)
	s_xor_b32 s1, exec_lo, s1
	s_cbranch_execz .LBB15_5
.LBB15_4:
	v_mul_lo_u32 v0, v2, s12
	v_mul_lo_u32 v11, v1, s13
	v_mad_u64_u32 v[7:8], null, v1, s12, 0
	v_mul_lo_u32 v2, v2, s16
	v_mul_lo_u32 v12, v1, s17
	v_mad_u64_u32 v[9:10], null, v1, s16, 0
	s_and_not1_b32 s0, s0, exec_lo
	s_delay_alu instid0(VALU_DEP_4) | instskip(NEXT) | instid1(VALU_DEP_2)
	v_add3_u32 v8, v8, v11, v0
	v_add3_u32 v10, v10, v12, v2
	s_delay_alu instid0(VALU_DEP_2) | instskip(SKIP_2) | instid1(VALU_DEP_4)
	v_lshlrev_b64 v[0:1], 3, v[7:8]
	v_add_co_u32 v7, vcc_lo, s6, v3
	v_add_co_ci_u32_e32 v8, vcc_lo, s7, v4, vcc_lo
	v_lshlrev_b64 v[9:10], 2, v[9:10]
	s_delay_alu instid0(VALU_DEP_4) | instskip(SKIP_2) | instid1(VALU_DEP_4)
	v_add_co_u32 v0, vcc_lo, s10, v0
	v_add_co_ci_u32_e32 v1, vcc_lo, s11, v1, vcc_lo
	v_mov_b32_e32 v2, 1
	v_add_co_u32 v9, vcc_lo, s14, v9
	v_add_co_ci_u32_e32 v10, vcc_lo, s15, v10, vcc_lo
	global_store_b32 v[7:8], v2, off
	s_waitcnt vmcnt(0)
	global_store_b64 v[0:1], v[5:6], off
	global_store_b32 v[9:10], v2, off
.LBB15_5:
	s_or_b32 exec_lo, exec_lo, s1
	s_delay_alu instid0(SALU_CYCLE_1)
	s_and_b32 exec_lo, exec_lo, s0
	s_cbranch_execz .LBB15_7
; %bb.6:
	v_add_co_u32 v0, vcc_lo, s6, v3
	v_add_co_ci_u32_e32 v1, vcc_lo, s7, v4, vcc_lo
	v_mov_b32_e32 v2, 0
	global_store_b32 v[0:1], v2, off
.LBB15_7:
	s_nop 0
	s_sendmsg sendmsg(MSG_DEALLOC_VGPRS)
	s_endpgm
	.section	.rodata,"a",@progbits
	.p2align	6, 0x0
	.amdhsa_kernel _ZN9rocsolver6v33100L18stebz_case1_kernelIdPdEEv15rocblas_erange_T_S4_T0_ilPiS6_PS4_lS6_lS6_li
		.amdhsa_group_segment_fixed_size 0
		.amdhsa_private_segment_fixed_size 0
		.amdhsa_kernarg_size 376
		.amdhsa_user_sgpr_count 15
		.amdhsa_user_sgpr_dispatch_ptr 0
		.amdhsa_user_sgpr_queue_ptr 0
		.amdhsa_user_sgpr_kernarg_segment_ptr 1
		.amdhsa_user_sgpr_dispatch_id 0
		.amdhsa_user_sgpr_private_segment_size 0
		.amdhsa_wavefront_size32 1
		.amdhsa_uses_dynamic_stack 0
		.amdhsa_enable_private_segment 0
		.amdhsa_system_sgpr_workgroup_id_x 1
		.amdhsa_system_sgpr_workgroup_id_y 0
		.amdhsa_system_sgpr_workgroup_id_z 0
		.amdhsa_system_sgpr_workgroup_info 0
		.amdhsa_system_vgpr_workitem_id 0
		.amdhsa_next_free_vgpr 13
		.amdhsa_next_free_sgpr 24
		.amdhsa_reserve_vcc 1
		.amdhsa_float_round_mode_32 0
		.amdhsa_float_round_mode_16_64 0
		.amdhsa_float_denorm_mode_32 3
		.amdhsa_float_denorm_mode_16_64 3
		.amdhsa_dx10_clamp 1
		.amdhsa_ieee_mode 1
		.amdhsa_fp16_overflow 0
		.amdhsa_workgroup_processor_mode 1
		.amdhsa_memory_ordered 1
		.amdhsa_forward_progress 0
		.amdhsa_shared_vgpr_count 0
		.amdhsa_exception_fp_ieee_invalid_op 0
		.amdhsa_exception_fp_denorm_src 0
		.amdhsa_exception_fp_ieee_div_zero 0
		.amdhsa_exception_fp_ieee_overflow 0
		.amdhsa_exception_fp_ieee_underflow 0
		.amdhsa_exception_fp_ieee_inexact 0
		.amdhsa_exception_int_div_zero 0
	.end_amdhsa_kernel
	.section	.text._ZN9rocsolver6v33100L18stebz_case1_kernelIdPdEEv15rocblas_erange_T_S4_T0_ilPiS6_PS4_lS6_lS6_li,"axG",@progbits,_ZN9rocsolver6v33100L18stebz_case1_kernelIdPdEEv15rocblas_erange_T_S4_T0_ilPiS6_PS4_lS6_lS6_li,comdat
.Lfunc_end15:
	.size	_ZN9rocsolver6v33100L18stebz_case1_kernelIdPdEEv15rocblas_erange_T_S4_T0_ilPiS6_PS4_lS6_lS6_li, .Lfunc_end15-_ZN9rocsolver6v33100L18stebz_case1_kernelIdPdEEv15rocblas_erange_T_S4_T0_ilPiS6_PS4_lS6_lS6_li
                                        ; -- End function
	.section	.AMDGPU.csdata,"",@progbits
; Kernel info:
; codeLenInByte = 636
; NumSgprs: 26
; NumVgprs: 13
; ScratchSize: 0
; MemoryBound: 0
; FloatMode: 240
; IeeeMode: 1
; LDSByteSize: 0 bytes/workgroup (compile time only)
; SGPRBlocks: 3
; VGPRBlocks: 1
; NumSGPRsForWavesPerEU: 26
; NumVGPRsForWavesPerEU: 13
; Occupancy: 16
; WaveLimiterHint : 0
; COMPUTE_PGM_RSRC2:SCRATCH_EN: 0
; COMPUTE_PGM_RSRC2:USER_SGPR: 15
; COMPUTE_PGM_RSRC2:TRAP_HANDLER: 0
; COMPUTE_PGM_RSRC2:TGID_X_EN: 1
; COMPUTE_PGM_RSRC2:TGID_Y_EN: 0
; COMPUTE_PGM_RSRC2:TGID_Z_EN: 0
; COMPUTE_PGM_RSRC2:TIDIG_COMP_CNT: 0
	.section	.text._ZN9rocsolver6v33100L22stebz_splitting_kernelIdPdEEv15rocblas_erange_iT_S4_iiT0_iiS5_iiPiPS4_lS6_lS6_S7_S7_S7_S7_S6_S4_S4_,"axG",@progbits,_ZN9rocsolver6v33100L22stebz_splitting_kernelIdPdEEv15rocblas_erange_iT_S4_iiT0_iiS5_iiPiPS4_lS6_lS6_S7_S7_S7_S7_S6_S4_S4_,comdat
	.globl	_ZN9rocsolver6v33100L22stebz_splitting_kernelIdPdEEv15rocblas_erange_iT_S4_iiT0_iiS5_iiPiPS4_lS6_lS6_S7_S7_S7_S7_S6_S4_S4_ ; -- Begin function _ZN9rocsolver6v33100L22stebz_splitting_kernelIdPdEEv15rocblas_erange_iT_S4_iiT0_iiS5_iiPiPS4_lS6_lS6_S7_S7_S7_S7_S6_S4_S4_
	.p2align	8
	.type	_ZN9rocsolver6v33100L22stebz_splitting_kernelIdPdEEv15rocblas_erange_iT_S4_iiT0_iiS5_iiPiPS4_lS6_lS6_S7_S7_S7_S7_S6_S4_S4_,@function
_ZN9rocsolver6v33100L22stebz_splitting_kernelIdPdEEv15rocblas_erange_iT_S4_iiT0_iiS5_iiPiPS4_lS6_lS6_S7_S7_S7_S7_S6_S4_S4_: ; @_ZN9rocsolver6v33100L22stebz_splitting_kernelIdPdEEv15rocblas_erange_iT_S4_iiT0_iiS5_iiPiPS4_lS6_lS6_S7_S7_S7_S7_S6_S4_S4_
; %bb.0:
	s_load_b64 s[34:35], s[0:1], 0x0
	v_lshlrev_b32_e32 v1, 2, v0
	v_mov_b32_e32 v3, 0
	s_mov_b32 s40, s15
	s_waitcnt lgkmcnt(0)
	s_add_i32 s33, s35, -1
	s_delay_alu instid0(SALU_CYCLE_1) | instskip(NEXT) | instid1(SALU_CYCLE_1)
	s_ashr_i32 s2, s33, 31
	s_lshr_b32 s2, s2, 24
	s_delay_alu instid0(SALU_CYCLE_1) | instskip(NEXT) | instid1(SALU_CYCLE_1)
	s_add_i32 s2, s33, s2
	s_and_b32 s3, s2, 0xffffff00
	s_ashr_i32 s2, s2, 8
	s_sub_i32 s3, s33, s3
	s_delay_alu instid0(SALU_CYCLE_1)
	v_cmp_gt_i32_e32 vcc_lo, s3, v0
	v_add_co_ci_u32_e64 v20, null, s2, 0, vcc_lo
	v_cmp_eq_u32_e64 s2, 0, v0
	v_cmp_ne_u32_e32 vcc_lo, 0, v0
	ds_store_b32 v1, v20 offset:2048
	s_waitcnt lgkmcnt(0)
	s_barrier
	buffer_gl0_inv
	s_and_saveexec_b32 s4, vcc_lo
	s_cbranch_execz .LBB16_10
; %bb.1:
	v_dual_mov_b32 v3, 0 :: v_dual_mov_b32 v2, 0
	s_mov_b32 s6, 0
	s_mov_b32 s5, exec_lo
	v_cmpx_lt_u32_e32 7, v0
	s_cbranch_execz .LBB16_5
; %bb.2:
	v_dual_mov_b32 v3, 0 :: v_dual_and_b32 v2, 0xf8, v0
	s_movk_i32 s7, 0x800
	s_mov_b32 s8, 0
	.p2align	6
.LBB16_3:                               ; =>This Inner Loop Header: Depth=1
	v_mov_b32_e32 v8, s7
	s_add_i32 s8, s8, 8
	s_add_i32 s7, s7, 32
	v_cmp_eq_u32_e64 s3, s8, v2
	ds_load_b128 v[4:7], v8
	ds_load_b128 v[8:11], v8 offset:16
	s_or_b32 s6, s3, s6
	s_waitcnt lgkmcnt(1)
	v_add_nc_u32_e32 v3, v4, v3
	s_delay_alu instid0(VALU_DEP_1) | instskip(NEXT) | instid1(VALU_DEP_1)
	v_add_nc_u32_e32 v3, v5, v3
	v_add_nc_u32_e32 v3, v6, v3
	s_delay_alu instid0(VALU_DEP_1) | instskip(SKIP_1) | instid1(VALU_DEP_1)
	v_add_nc_u32_e32 v3, v7, v3
	s_waitcnt lgkmcnt(0)
	v_add_nc_u32_e32 v3, v8, v3
	s_delay_alu instid0(VALU_DEP_1) | instskip(NEXT) | instid1(VALU_DEP_1)
	v_add_nc_u32_e32 v3, v9, v3
	v_add_nc_u32_e32 v3, v10, v3
	s_delay_alu instid0(VALU_DEP_1)
	v_add_nc_u32_e32 v3, v11, v3
	s_and_not1_b32 exec_lo, exec_lo, s6
	s_cbranch_execnz .LBB16_3
; %bb.4:
	s_or_b32 exec_lo, exec_lo, s6
.LBB16_5:
	s_delay_alu instid0(SALU_CYCLE_1) | instskip(SKIP_3) | instid1(VALU_DEP_1)
	s_or_b32 exec_lo, exec_lo, s5
	v_and_b32_e32 v4, 7, v0
	s_mov_b32 s6, 0
	s_mov_b32 s5, exec_lo
	v_cmpx_ne_u32_e32 0, v4
	s_cbranch_execz .LBB16_9
; %bb.6:
	v_lshl_or_b32 v2, v2, 2, 0x800
.LBB16_7:                               ; =>This Inner Loop Header: Depth=1
	ds_load_b32 v5, v2
	v_add_nc_u32_e32 v4, -1, v4
	v_add_nc_u32_e32 v2, 4, v2
	s_delay_alu instid0(VALU_DEP_2) | instskip(NEXT) | instid1(VALU_DEP_1)
	v_cmp_eq_u32_e64 s3, 0, v4
	s_or_b32 s6, s3, s6
	s_waitcnt lgkmcnt(0)
	v_add_nc_u32_e32 v3, v5, v3
	s_and_not1_b32 exec_lo, exec_lo, s6
	s_cbranch_execnz .LBB16_7
; %bb.8:
	s_or_b32 exec_lo, exec_lo, s6
.LBB16_9:
	s_delay_alu instid0(SALU_CYCLE_1)
	s_or_b32 exec_lo, exec_lo, s5
.LBB16_10:
	s_delay_alu instid0(SALU_CYCLE_1)
	s_or_b32 exec_lo, exec_lo, s4
	s_clause 0x3
	s_load_b128 s[36:39], s[0:1], 0x20
	s_load_b512 s[8:23], s[0:1], 0x40
	s_load_b64 s[42:43], s[0:1], 0xa0
	s_load_b256 s[24:31], s[0:1], 0x80
	v_ashrrev_i32_e32 v4, 31, v3
	s_mul_i32 s4, s40, s35
	v_or_b32_e32 v19, 0x800, v1
	s_ashr_i32 s5, s4, 31
	s_mul_i32 s44, s33, s40
	v_lshlrev_b64 v[1:2], 2, v[3:4]
	s_lshl_b64 s[4:5], s[4:5], 2
	s_ashr_i32 s41, s40, 31
	s_ashr_i32 s45, s44, 31
	v_mov_b32_e32 v5, 0
	s_waitcnt lgkmcnt(0)
	s_ashr_i32 s47, s38, 31
	s_mul_i32 s3, s40, s13
	s_mul_hi_u32 s6, s40, s12
	s_add_u32 s4, s18, s4
	s_addc_u32 s5, s19, s5
	s_add_i32 s6, s6, s3
	v_add_co_u32 v1, s3, s4, v1
	s_delay_alu instid0(VALU_DEP_1)
	v_add_co_ci_u32_e64 v2, s3, s5, v2, s3
	s_mul_i32 s7, s41, s12
	s_mov_b32 s46, s38
	s_mul_hi_i32 s49, s39, s40
	s_mul_i32 s48, s39, s40
	s_add_i32 s13, s6, s7
	s_mul_i32 s12, s40, s12
	s_mov_b32 s6, 0
	s_mov_b32 s5, exec_lo
	v_cmpx_lt_i32_e32 0, v20
	s_cbranch_execz .LBB16_16
; %bb.11:
	s_load_b128 s[52:55], s[0:1], 0x30
	v_lshlrev_b64 v[4:5], 3, v[3:4]
	s_waitcnt lgkmcnt(0)
	s_ashr_i32 s19, s54, 31
	s_mul_hi_i32 s39, s40, s55
	s_mul_i32 s38, s40, s55
	s_mov_b32 s18, s54
	s_lshl_b64 s[38:39], s[38:39], 3
	s_lshl_b64 s[18:19], s[18:19], 3
	s_delay_alu instid0(SALU_CYCLE_1)
	s_add_u32 s3, s38, s18
	s_addc_u32 s4, s39, s19
	s_add_u32 s3, s52, s3
	s_addc_u32 s4, s53, s4
	v_add_co_u32 v7, s3, s3, v4
	s_lshl_b64 s[18:19], s[48:49], 3
	s_lshl_b64 s[38:39], s[46:47], 3
	v_add_co_ci_u32_e64 v8, s3, s4, v5, s3
	s_add_u32 s3, s18, s38
	s_addc_u32 s4, s19, s39
	s_add_u32 s3, s36, s3
	s_addc_u32 s4, s37, s4
	v_add_co_u32 v9, s3, s3, v4
	s_lshl_b64 s[18:19], s[44:45], 3
	v_add_co_ci_u32_e64 v10, s3, s4, v5, s3
	s_add_u32 s3, s22, s18
	s_addc_u32 s4, s23, s19
	v_add_co_u32 v11, s3, s3, v4
	s_lshl_b64 s[18:19], s[12:13], 3
	v_add_co_ci_u32_e64 v12, s3, s4, v5, s3
	s_add_u32 s3, s10, s18
	s_addc_u32 s4, s11, s19
	v_add_co_u32 v13, s3, s3, v4
	s_delay_alu instid0(VALU_DEP_1)
	v_add_co_ci_u32_e64 v14, s3, s4, v5, s3
	v_mov_b32_e32 v5, 0
	s_branch .LBB16_13
.LBB16_12:                              ;   in Loop: Header=BB16_13 Depth=1
	s_or_b32 exec_lo, exec_lo, s4
	v_add_co_u32 v7, s3, v7, 8
	s_delay_alu instid0(VALU_DEP_1)
	v_add_co_ci_u32_e64 v8, s3, 0, v8, s3
	v_add_co_u32 v9, s3, v9, 8
	v_add_nc_u32_e32 v20, -1, v20
	v_add_co_ci_u32_e64 v10, s3, 0, v10, s3
	global_store_b64 v[11:12], v[17:18], off
	global_store_b64 v[13:14], v[15:16], off
	v_add_co_u32 v11, s3, v11, 8
	s_delay_alu instid0(VALU_DEP_1) | instskip(SKIP_4) | instid1(VALU_DEP_4)
	v_add_co_ci_u32_e64 v12, s3, 0, v12, s3
	v_cmp_eq_u32_e64 s3, 0, v20
	v_add_co_u32 v13, s4, v13, 8
	v_add_nc_u32_e32 v3, 1, v3
	v_add_co_ci_u32_e64 v14, s4, 0, v14, s4
	s_or_b32 s6, s3, s6
	s_delay_alu instid0(SALU_CYCLE_1)
	s_and_not1_b32 exec_lo, exec_lo, s6
	s_cbranch_execz .LBB16_15
.LBB16_13:                              ; =>This Inner Loop Header: Depth=1
	global_load_b128 v[21:24], v[9:10], off
	global_load_b64 v[15:16], v[7:8], off
	s_mov_b32 s4, exec_lo
	s_waitcnt vmcnt(1)
	v_mul_f64 v[17:18], v[21:22], v[23:24]
	s_delay_alu instid0(VALU_DEP_1) | instskip(SKIP_2) | instid1(VALU_DEP_2)
	v_mul_f64 v[21:22], |v[17:18]|, s[30:31]
	s_waitcnt vmcnt(0)
	v_mul_f64 v[17:18], v[15:16], v[15:16]
	v_fma_f64 v[21:22], v[21:22], s[30:31], s[42:43]
	s_delay_alu instid0(VALU_DEP_1)
	v_cmpx_gt_f64_e32 v[21:22], v[17:18]
	s_cbranch_execz .LBB16_12
; %bb.14:                               ;   in Loop: Header=BB16_13 Depth=1
	v_ashrrev_i32_e32 v6, 31, v5
	v_mov_b32_e32 v17, 0
	v_mov_b32_e32 v18, 0
	s_delay_alu instid0(VALU_DEP_3) | instskip(SKIP_1) | instid1(VALU_DEP_2)
	v_lshlrev_b64 v[15:16], 2, v[5:6]
	v_add_nc_u32_e32 v5, 1, v5
	v_add_co_u32 v21, s3, v1, v15
	s_delay_alu instid0(VALU_DEP_1)
	v_add_co_ci_u32_e64 v22, s3, v2, v16, s3
	v_dual_mov_b32 v15, v17 :: v_dual_mov_b32 v16, v18
	global_store_b32 v[21:22], v3, off
	s_branch .LBB16_12
.LBB16_15:
	s_or_b32 exec_lo, exec_lo, s6
.LBB16_16:
	s_delay_alu instid0(SALU_CYCLE_1)
	s_or_b32 exec_lo, exec_lo, s5
	v_mov_b32_e32 v3, 0
	ds_store_b32 v19, v5
	s_waitcnt lgkmcnt(0)
	s_waitcnt_vscnt null, 0x0
	s_barrier
	buffer_gl0_inv
	s_and_saveexec_b32 s3, vcc_lo
	s_cbranch_execz .LBB16_26
; %bb.17:
	v_dual_mov_b32 v3, 0 :: v_dual_mov_b32 v4, 0
	s_mov_b32 s5, 0
	s_mov_b32 s4, exec_lo
	v_cmpx_lt_u32_e32 7, v0
	s_cbranch_execz .LBB16_21
; %bb.18:
	v_dual_mov_b32 v3, 0 :: v_dual_and_b32 v4, 0xf8, v0
	s_movk_i32 s6, 0x800
	s_mov_b32 s7, 0
	.p2align	6
.LBB16_19:                              ; =>This Inner Loop Header: Depth=1
	v_mov_b32_e32 v10, s6
	s_add_i32 s7, s7, 8
	s_add_i32 s6, s6, 32
	v_cmp_eq_u32_e32 vcc_lo, s7, v4
	ds_load_b128 v[6:9], v10
	ds_load_b128 v[10:13], v10 offset:16
	s_or_b32 s5, vcc_lo, s5
	s_waitcnt lgkmcnt(1)
	v_add_nc_u32_e32 v3, v6, v3
	s_delay_alu instid0(VALU_DEP_1) | instskip(NEXT) | instid1(VALU_DEP_1)
	v_add_nc_u32_e32 v3, v7, v3
	v_add_nc_u32_e32 v3, v8, v3
	s_delay_alu instid0(VALU_DEP_1) | instskip(SKIP_1) | instid1(VALU_DEP_1)
	v_add_nc_u32_e32 v3, v9, v3
	s_waitcnt lgkmcnt(0)
	v_add_nc_u32_e32 v3, v10, v3
	s_delay_alu instid0(VALU_DEP_1) | instskip(NEXT) | instid1(VALU_DEP_1)
	v_add_nc_u32_e32 v3, v11, v3
	v_add_nc_u32_e32 v3, v12, v3
	s_delay_alu instid0(VALU_DEP_1)
	v_add_nc_u32_e32 v3, v13, v3
	s_and_not1_b32 exec_lo, exec_lo, s5
	s_cbranch_execnz .LBB16_19
; %bb.20:
	s_or_b32 exec_lo, exec_lo, s5
.LBB16_21:
	s_delay_alu instid0(SALU_CYCLE_1) | instskip(SKIP_3) | instid1(VALU_DEP_1)
	s_or_b32 exec_lo, exec_lo, s4
	v_and_b32_e32 v6, 7, v0
	s_mov_b32 s5, 0
	s_mov_b32 s4, exec_lo
	v_cmpx_ne_u32_e32 0, v6
	s_cbranch_execz .LBB16_25
; %bb.22:
	v_lshl_or_b32 v4, v4, 2, 0x800
.LBB16_23:                              ; =>This Inner Loop Header: Depth=1
	ds_load_b32 v7, v4
	v_add_nc_u32_e32 v6, -1, v6
	v_add_nc_u32_e32 v4, 4, v4
	s_delay_alu instid0(VALU_DEP_2)
	v_cmp_eq_u32_e32 vcc_lo, 0, v6
	s_or_b32 s5, vcc_lo, s5
	s_waitcnt lgkmcnt(0)
	v_add_nc_u32_e32 v3, v7, v3
	s_and_not1_b32 exec_lo, exec_lo, s5
	s_cbranch_execnz .LBB16_23
; %bb.24:
	s_or_b32 exec_lo, exec_lo, s5
.LBB16_25:
	s_delay_alu instid0(SALU_CYCLE_1)
	s_or_b32 exec_lo, exec_lo, s4
.LBB16_26:
	s_delay_alu instid0(SALU_CYCLE_1)
	s_or_b32 exec_lo, exec_lo, s3
	s_mul_i32 s3, s40, s17
	s_mul_hi_u32 s4, s40, s16
	s_mov_b32 s7, 0
	s_add_i32 s3, s4, s3
	s_mul_i32 s4, s41, s16
	s_mov_b32 s6, exec_lo
	s_add_i32 s5, s3, s4
	s_mul_i32 s4, s40, s16
	v_cmpx_lt_i32_e32 0, v5
	s_cbranch_execz .LBB16_29
; %bb.27:
	v_ashrrev_i32_e32 v4, 31, v3
	s_lshl_b64 s[16:17], s[4:5], 2
	s_delay_alu instid0(SALU_CYCLE_1) | instskip(SKIP_1) | instid1(VALU_DEP_1)
	s_add_u32 s3, s14, s16
	s_addc_u32 s16, s15, s17
	v_lshlrev_b64 v[6:7], 2, v[3:4]
	v_mov_b32_e32 v4, v5
	s_delay_alu instid0(VALU_DEP_2) | instskip(NEXT) | instid1(VALU_DEP_3)
	v_add_co_u32 v6, vcc_lo, s3, v6
	v_add_co_ci_u32_e32 v7, vcc_lo, s16, v7, vcc_lo
	.p2align	6
.LBB16_28:                              ; =>This Inner Loop Header: Depth=1
	global_load_b32 v8, v[1:2], off
	v_add_nc_u32_e32 v4, -1, v4
	v_add_co_u32 v1, vcc_lo, v1, 4
	v_add_co_ci_u32_e32 v2, vcc_lo, 0, v2, vcc_lo
	s_delay_alu instid0(VALU_DEP_3)
	v_cmp_eq_u32_e32 vcc_lo, 0, v4
	s_or_b32 s7, vcc_lo, s7
	s_waitcnt vmcnt(0)
	v_add_nc_u32_e32 v8, 1, v8
	global_store_b32 v[6:7], v8, off
	v_add_co_u32 v6, s3, v6, 4
	s_delay_alu instid0(VALU_DEP_1)
	v_add_co_ci_u32_e64 v7, s3, 0, v7, s3
	s_and_not1_b32 exec_lo, exec_lo, s7
	s_cbranch_execnz .LBB16_28
.LBB16_29:
	s_or_b32 exec_lo, exec_lo, s6
	v_cmp_eq_u32_e64 s3, 0xff, v0
	s_delay_alu instid0(VALU_DEP_1)
	s_and_saveexec_b32 s6, s3
	s_cbranch_execz .LBB16_31
; %bb.30:
	v_dual_mov_b32 v4, 0 :: v_dual_add_nc_u32 v1, v3, v5
	s_lshl_b64 s[16:17], s[40:41], 2
	v_mov_b32_e32 v5, s35
	s_add_u32 s8, s8, s16
	s_delay_alu instid0(VALU_DEP_2) | instskip(SKIP_2) | instid1(SALU_CYCLE_1)
	v_ashrrev_i32_e32 v2, 31, v1
	s_addc_u32 s9, s9, s17
	s_lshl_b64 s[4:5], s[4:5], 2
	s_add_u32 s4, s14, s4
	s_delay_alu instid0(VALU_DEP_1) | instskip(SKIP_2) | instid1(VALU_DEP_2)
	v_lshlrev_b64 v[2:3], 2, v[1:2]
	s_addc_u32 s5, s15, s5
	v_add_nc_u32_e32 v1, 1, v1
	v_add_co_u32 v2, vcc_lo, s4, v2
	s_delay_alu instid0(VALU_DEP_3)
	v_add_co_ci_u32_e32 v3, vcc_lo, s5, v3, vcc_lo
	global_store_b32 v[2:3], v5, off
	global_store_b32 v4, v1, s[8:9]
.LBB16_31:
	s_or_b32 exec_lo, exec_lo, s6
	v_mov_b32_e32 v1, 0
	v_bfrev_b32_e32 v6, -2
	v_dual_mov_b32 v2, 0 :: v_dual_lshlrev_b32 v5, 3, v0
	s_mov_b32 s5, exec_lo
	s_waitcnt_vscnt null, 0x0
	s_barrier
	buffer_gl0_inv
	v_cmpx_gt_i32_e64 s33, v0
	s_cbranch_execz .LBB16_35
; %bb.32:
	s_lshl_b64 s[6:7], s[44:45], 3
	v_mov_b32_e32 v1, 0
	s_add_u32 s4, s22, s6
	s_addc_u32 s6, s23, s7
	v_add_co_u32 v3, s4, s4, v5
	s_delay_alu instid0(VALU_DEP_1)
	v_add_co_ci_u32_e64 v4, null, s6, 0, s4
	v_bfrev_b32_e32 v6, -2
	v_dual_mov_b32 v2, 0 :: v_dual_mov_b32 v7, v0
	s_mov_b32 s6, 0
	.p2align	6
.LBB16_33:                              ; =>This Inner Loop Header: Depth=1
	global_load_b64 v[8:9], v[3:4], off
	v_cmp_eq_u32_e32 vcc_lo, 0x7fffffff, v6
	v_add_co_u32 v3, s4, 0x800, v3
	s_delay_alu instid0(VALU_DEP_1) | instskip(SKIP_2) | instid1(VALU_DEP_1)
	v_add_co_ci_u32_e64 v4, s4, 0, v4, s4
	s_waitcnt vmcnt(0)
	v_cmp_lt_f64_e64 s7, v[1:2], |v[8:9]|
	s_or_b32 vcc_lo, s7, vcc_lo
	v_dual_cndmask_b32 v1, v1, v8 :: v_dual_add_nc_u32 v10, 1, v7
	s_delay_alu instid0(VALU_DEP_1) | instskip(NEXT) | instid1(VALU_DEP_1)
	v_dual_cndmask_b32 v6, v6, v10 :: v_dual_and_b32 v9, 0x7fffffff, v9
	v_dual_cndmask_b32 v2, v2, v9 :: v_dual_add_nc_u32 v7, 0x100, v7
	s_delay_alu instid0(VALU_DEP_1) | instskip(NEXT) | instid1(VALU_DEP_1)
	v_cmp_le_i32_e64 s4, s33, v7
	s_or_b32 s6, s4, s6
	s_delay_alu instid0(SALU_CYCLE_1)
	s_and_not1_b32 exec_lo, exec_lo, s6
	s_cbranch_execnz .LBB16_33
; %bb.34:
	s_or_b32 exec_lo, exec_lo, s6
.LBB16_35:
	s_delay_alu instid0(SALU_CYCLE_1)
	s_or_b32 exec_lo, exec_lo, s5
	s_cmp_lt_i32 s35, 3
	ds_store_b64 v5, v[1:2]
	ds_store_b32 v19, v6
	s_waitcnt lgkmcnt(0)
	s_barrier
	buffer_gl0_inv
	s_cbranch_scc1 .LBB16_72
; %bb.36:
	s_mov_b32 s5, exec_lo
	v_cmpx_gt_u32_e32 0x80, v0
	s_cbranch_execz .LBB16_42
; %bb.37:
	ds_load_b64 v[3:4], v5 offset:1024
	ds_load_b32 v7, v19 offset:512
	s_mov_b32 s7, exec_lo
	s_waitcnt lgkmcnt(1)
	v_cmp_lt_f64_e64 s6, v[1:2], v[3:4]
	v_cmpx_nlt_f64_e32 v[1:2], v[3:4]
	s_cbranch_execz .LBB16_39
; %bb.38:
	v_cmp_eq_f64_e32 vcc_lo, v[1:2], v[3:4]
	s_waitcnt lgkmcnt(0)
	v_cmp_gt_i32_e64 s4, v6, v7
	s_delay_alu instid0(VALU_DEP_4) | instskip(NEXT) | instid1(VALU_DEP_1)
	s_and_not1_b32 s6, s6, exec_lo
	s_and_b32 s4, vcc_lo, s4
	s_delay_alu instid0(SALU_CYCLE_1) | instskip(NEXT) | instid1(SALU_CYCLE_1)
	s_and_b32 s4, s4, exec_lo
	s_or_b32 s6, s6, s4
.LBB16_39:
	s_or_b32 exec_lo, exec_lo, s7
	s_delay_alu instid0(VALU_DEP_2)
	s_and_saveexec_b32 s4, s6
	s_cbranch_execz .LBB16_41
; %bb.40:
	s_waitcnt lgkmcnt(0)
	v_mov_b32_e32 v6, v7
	v_dual_mov_b32 v1, v3 :: v_dual_mov_b32 v2, v4
	ds_store_b64 v5, v[3:4]
	ds_store_b32 v19, v7
.LBB16_41:
	s_or_b32 exec_lo, exec_lo, s4
.LBB16_42:
	s_delay_alu instid0(SALU_CYCLE_1) | instskip(NEXT) | instid1(SALU_CYCLE_1)
	s_or_b32 exec_lo, exec_lo, s5
	s_mov_b32 s5, exec_lo
	s_waitcnt lgkmcnt(0)
	s_barrier
	buffer_gl0_inv
	v_cmpx_gt_u32_e32 64, v0
	s_cbranch_execz .LBB16_48
; %bb.43:
	ds_load_b64 v[3:4], v5 offset:512
	ds_load_b32 v7, v19 offset:256
	s_mov_b32 s7, exec_lo
	s_waitcnt lgkmcnt(1)
	v_cmp_lt_f64_e64 s6, v[1:2], v[3:4]
	v_cmpx_nlt_f64_e32 v[1:2], v[3:4]
	s_cbranch_execz .LBB16_45
; %bb.44:
	v_cmp_eq_f64_e32 vcc_lo, v[1:2], v[3:4]
	s_waitcnt lgkmcnt(0)
	v_cmp_gt_i32_e64 s4, v6, v7
	s_delay_alu instid0(VALU_DEP_4) | instskip(NEXT) | instid1(VALU_DEP_1)
	s_and_not1_b32 s6, s6, exec_lo
	s_and_b32 s4, vcc_lo, s4
	s_delay_alu instid0(SALU_CYCLE_1) | instskip(NEXT) | instid1(SALU_CYCLE_1)
	s_and_b32 s4, s4, exec_lo
	s_or_b32 s6, s6, s4
.LBB16_45:
	s_or_b32 exec_lo, exec_lo, s7
	s_delay_alu instid0(VALU_DEP_2)
	s_and_saveexec_b32 s4, s6
	s_cbranch_execz .LBB16_47
; %bb.46:
	s_waitcnt lgkmcnt(0)
	v_mov_b32_e32 v6, v7
	v_dual_mov_b32 v1, v3 :: v_dual_mov_b32 v2, v4
	ds_store_b64 v5, v[3:4]
	ds_store_b32 v19, v7
.LBB16_47:
	s_or_b32 exec_lo, exec_lo, s4
.LBB16_48:
	s_delay_alu instid0(SALU_CYCLE_1) | instskip(NEXT) | instid1(SALU_CYCLE_1)
	s_or_b32 exec_lo, exec_lo, s5
	s_mov_b32 s6, exec_lo
	s_waitcnt lgkmcnt(0)
	s_barrier
	buffer_gl0_inv
	v_cmpx_gt_u32_e32 32, v0
	s_cbranch_execz .LBB16_71
; %bb.49:
	ds_load_b64 v[3:4], v5 offset:256
	ds_load_b32 v7, v19 offset:128
	s_mov_b32 s7, exec_lo
	s_waitcnt lgkmcnt(1)
	v_cmp_lt_f64_e64 s5, v[1:2], v[3:4]
	v_cmpx_nlt_f64_e32 v[1:2], v[3:4]
	s_cbranch_execz .LBB16_51
; %bb.50:
	v_cmp_eq_f64_e32 vcc_lo, v[1:2], v[3:4]
	s_waitcnt lgkmcnt(0)
	v_cmp_gt_i32_e64 s4, v6, v7
	s_delay_alu instid0(VALU_DEP_4) | instskip(NEXT) | instid1(VALU_DEP_1)
	s_and_not1_b32 s5, s5, exec_lo
	s_and_b32 s4, vcc_lo, s4
	s_delay_alu instid0(SALU_CYCLE_1) | instskip(NEXT) | instid1(SALU_CYCLE_1)
	s_and_b32 s4, s4, exec_lo
	s_or_b32 s5, s5, s4
.LBB16_51:
	s_or_b32 exec_lo, exec_lo, s7
	s_delay_alu instid0(VALU_DEP_2)
	s_and_saveexec_b32 s4, s5
	s_cbranch_execz .LBB16_53
; %bb.52:
	v_dual_mov_b32 v1, v3 :: v_dual_mov_b32 v2, v4
	s_waitcnt lgkmcnt(0)
	v_mov_b32_e32 v6, v7
	ds_store_b64 v5, v[3:4]
	ds_store_b32 v19, v7
.LBB16_53:
	s_or_b32 exec_lo, exec_lo, s4
	ds_load_b64 v[3:4], v5 offset:128
	s_waitcnt lgkmcnt(1)
	ds_load_b32 v7, v19 offset:64
	s_mov_b32 s7, exec_lo
	s_waitcnt lgkmcnt(1)
	v_cmp_lt_f64_e64 s5, v[1:2], v[3:4]
	v_cmpx_nlt_f64_e32 v[1:2], v[3:4]
	s_cbranch_execz .LBB16_55
; %bb.54:
	v_cmp_eq_f64_e32 vcc_lo, v[1:2], v[3:4]
	s_waitcnt lgkmcnt(0)
	v_cmp_gt_i32_e64 s4, v6, v7
	s_delay_alu instid0(VALU_DEP_4) | instskip(NEXT) | instid1(VALU_DEP_1)
	s_and_not1_b32 s5, s5, exec_lo
	s_and_b32 s4, vcc_lo, s4
	s_delay_alu instid0(SALU_CYCLE_1) | instskip(NEXT) | instid1(SALU_CYCLE_1)
	s_and_b32 s4, s4, exec_lo
	s_or_b32 s5, s5, s4
.LBB16_55:
	s_or_b32 exec_lo, exec_lo, s7
	s_delay_alu instid0(VALU_DEP_2)
	s_and_saveexec_b32 s4, s5
	s_cbranch_execz .LBB16_57
; %bb.56:
	v_dual_mov_b32 v1, v3 :: v_dual_mov_b32 v2, v4
	s_waitcnt lgkmcnt(0)
	v_mov_b32_e32 v6, v7
	ds_store_b64 v5, v[3:4]
	ds_store_b32 v19, v7
.LBB16_57:
	s_or_b32 exec_lo, exec_lo, s4
	ds_load_b64 v[3:4], v5 offset:64
	s_waitcnt lgkmcnt(1)
	;; [unrolled: 31-line block ×5, first 2 shown]
	ds_load_b32 v7, v19 offset:4
	s_waitcnt lgkmcnt(1)
	v_cmp_eq_f64_e32 vcc_lo, v[1:2], v[3:4]
	v_cmp_lt_f64_e64 s4, v[1:2], v[3:4]
	s_waitcnt lgkmcnt(0)
	v_cmp_gt_i32_e64 s5, v6, v7
	s_delay_alu instid0(VALU_DEP_1)
	s_and_b32 s5, vcc_lo, s5
	s_delay_alu instid0(VALU_DEP_2) | instid1(SALU_CYCLE_1)
	s_or_b32 s4, s4, s5
	s_delay_alu instid0(SALU_CYCLE_1)
	s_and_b32 exec_lo, exec_lo, s4
	s_cbranch_execz .LBB16_71
; %bb.70:
	ds_store_b64 v5, v[3:4]
	ds_store_b32 v19, v7
.LBB16_71:
	s_or_b32 exec_lo, exec_lo, s6
.LBB16_72:
	s_load_b128 s[4:7], s[0:1], 0x8
	v_mov_b32_e32 v1, 0
	s_waitcnt lgkmcnt(0)
	s_barrier
	buffer_gl0_inv
	v_dual_mov_b32 v3, s6 :: v_dual_mov_b32 v4, s7
	ds_load_b64 v[1:2], v1
	s_waitcnt lgkmcnt(0)
	v_mul_f64 v[1:2], v[1:2], s[42:43]
	s_delay_alu instid0(VALU_DEP_1) | instskip(SKIP_4) | instid1(VALU_DEP_3)
	v_cmp_gt_f64_e32 vcc_lo, s[42:43], v[1:2]
	v_readfirstlane_b32 s8, v2
	v_readfirstlane_b32 s14, v1
	v_dual_mov_b32 v1, s4 :: v_dual_mov_b32 v2, s5
	s_and_b32 s9, vcc_lo, exec_lo
	s_cselect_b32 s9, s43, s8
	s_delay_alu instid0(VALU_DEP_2)
	s_cselect_b32 s8, s42, s14
	s_cmpk_lg_i32 s34, 0xe9
	s_cbranch_scc0 .LBB16_75
; %bb.73:
	s_and_saveexec_b32 s0, s2
	s_cbranch_execnz .LBB16_126
.LBB16_74:
	s_nop 0
	s_sendmsg sendmsg(MSG_DEALLOC_VGPRS)
	s_endpgm
.LBB16_75:
	s_lshl_b64 s[38:39], s[48:49], 3
	v_dual_mov_b32 v3, s6 :: v_dual_mov_b32 v4, s7
	s_add_u32 s14, s36, s38
	s_addc_u32 s15, s37, s39
	s_lshl_b64 s[42:43], s[46:47], 3
	v_dual_mov_b32 v1, s4 :: v_dual_mov_b32 v2, s5
	s_add_u32 s46, s14, s42
	s_addc_u32 s47, s15, s43
	s_lshl_b64 s[14:15], s[44:45], 3
	s_delay_alu instid0(SALU_CYCLE_1) | instskip(SKIP_2) | instid1(SALU_CYCLE_1)
	s_add_u32 s18, s22, s14
	s_addc_u32 s19, s23, s15
	s_lshl_b64 s[12:13], s[12:13], 3
	s_add_u32 s22, s10, s12
	s_addc_u32 s23, s11, s13
	s_lshl_b32 s10, s35, 1
	s_delay_alu instid0(SALU_CYCLE_1) | instskip(NEXT) | instid1(SALU_CYCLE_1)
	s_mul_i32 s12, s10, s40
	s_ashr_i32 s13, s12, 31
	s_delay_alu instid0(SALU_CYCLE_1) | instskip(NEXT) | instid1(SALU_CYCLE_1)
	s_lshl_b64 s[16:17], s[12:13], 3
	s_add_u32 s6, s26, s16
	s_addc_u32 s7, s27, s17
	s_lshl_b64 s[12:13], s[12:13], 2
	s_delay_alu instid0(SALU_CYCLE_1)
	s_add_u32 s14, s28, s12
	s_addc_u32 s15, s29, s13
	s_and_saveexec_b32 s5, s2
	s_cbranch_execz .LBB16_83
; %bb.76:
	v_mov_b32_e32 v10, 0
	s_cmp_gt_i32 s35, 1
	s_clause 0x1
	global_load_b64 v[6:7], v10, s[46:47]
	global_load_b64 v[3:4], v10, s[22:23]
	s_cselect_b32 s11, -1, 0
	s_cmp_lt_i32 s35, 2
	s_waitcnt vmcnt(0)
	v_add_f64 v[1:2], v[6:7], -|v[3:4]|
	v_and_b32_e32 v4, 0x7fffffff, v4
	s_delay_alu instid0(VALU_DEP_2) | instskip(NEXT) | instid1(VALU_DEP_1)
	v_add_f64 v[8:9], v[6:7], -v[1:2]
	v_cmp_ge_f64_e32 vcc_lo, s[8:9], v[8:9]
	v_cndmask_b32_e64 v5, 0, 1, vcc_lo
	s_cbranch_scc1 .LBB16_79
; %bb.77:
	v_cmp_gt_f64_e64 s4, v[8:9], -s[8:9]
	s_xor_b32 s50, s9, 0x80000000
	s_mov_b64 s[44:45], s[18:19]
	s_mov_b32 s51, s33
	s_delay_alu instid0(VALU_DEP_1)
	s_and_b32 s4, vcc_lo, s4
	s_add_u32 s48, s38, s42
	v_cndmask_b32_e64 v9, v9, s50, s4
	v_cndmask_b32_e64 v8, v8, s8, s4
	s_addc_u32 s4, s39, s43
	s_add_u32 s48, s48, s36
	s_addc_u32 s4, s4, s37
	s_add_u32 s48, s48, 8
	s_addc_u32 s49, s4, 0
	s_set_inst_prefetch_distance 0x1
	.p2align	6
.LBB16_78:                              ; =>This Inner Loop Header: Depth=1
	s_clause 0x1
	global_load_b64 v[11:12], v10, s[44:45]
	global_load_b64 v[13:14], v10, s[48:49]
	s_add_i32 s51, s51, -1
	s_waitcnt vmcnt(1)
	v_div_scale_f64 v[15:16], null, v[8:9], v[8:9], v[11:12]
	v_div_scale_f64 v[21:22], vcc_lo, v[11:12], v[8:9], v[11:12]
	s_waitcnt vmcnt(0)
	v_add_f64 v[13:14], v[13:14], -v[1:2]
	s_delay_alu instid0(VALU_DEP_3) | instskip(SKIP_2) | instid1(VALU_DEP_1)
	v_rcp_f64_e32 v[17:18], v[15:16]
	s_waitcnt_depctr 0xfff
	v_fma_f64 v[19:20], -v[15:16], v[17:18], 1.0
	v_fma_f64 v[17:18], v[17:18], v[19:20], v[17:18]
	s_delay_alu instid0(VALU_DEP_1) | instskip(NEXT) | instid1(VALU_DEP_1)
	v_fma_f64 v[19:20], -v[15:16], v[17:18], 1.0
	v_fma_f64 v[17:18], v[17:18], v[19:20], v[17:18]
	s_delay_alu instid0(VALU_DEP_1) | instskip(NEXT) | instid1(VALU_DEP_1)
	v_mul_f64 v[19:20], v[21:22], v[17:18]
	v_fma_f64 v[15:16], -v[15:16], v[19:20], v[21:22]
	s_delay_alu instid0(VALU_DEP_1) | instskip(NEXT) | instid1(VALU_DEP_1)
	v_div_fmas_f64 v[15:16], v[15:16], v[17:18], v[19:20]
	v_div_fixup_f64 v[8:9], v[15:16], v[8:9], v[11:12]
	s_delay_alu instid0(VALU_DEP_1) | instskip(NEXT) | instid1(VALU_DEP_1)
	v_add_f64 v[8:9], v[13:14], -v[8:9]
	v_cmp_ge_f64_e32 vcc_lo, s[8:9], v[8:9]
	v_cmp_gt_f64_e64 s52, v[8:9], -s[8:9]
	v_add_co_ci_u32_e64 v5, s4, 0, v5, vcc_lo
	s_delay_alu instid0(VALU_DEP_2)
	s_and_b32 s4, vcc_lo, s52
	s_add_u32 s44, s44, 8
	v_cndmask_b32_e64 v9, v9, s50, s4
	v_cndmask_b32_e64 v8, v8, s8, s4
	s_addc_u32 s45, s45, 0
	s_add_u32 s48, s48, 8
	s_addc_u32 s49, s49, 0
	s_cmp_lg_u32 s51, 0
	s_cbranch_scc1 .LBB16_78
.LBB16_79:
	s_set_inst_prefetch_distance 0x2
	v_add_f64 v[3:4], v[6:7], v[3:4]
	s_and_not1_b32 vcc_lo, exec_lo, s11
	s_delay_alu instid0(VALU_DEP_1) | instskip(NEXT) | instid1(VALU_DEP_1)
	v_add_f64 v[7:8], v[6:7], -v[3:4]
	v_cmp_ge_f64_e64 s4, s[8:9], v[7:8]
	s_delay_alu instid0(VALU_DEP_1)
	v_cndmask_b32_e64 v6, 0, 1, s4
	s_cbranch_vccnz .LBB16_82
; %bb.80:
	v_cmp_gt_f64_e64 s48, v[7:8], -s[8:9]
	s_xor_b32 s11, s9, 0x80000000
	v_mov_b32_e32 v9, 0
	s_mov_b64 s[44:45], s[18:19]
	s_mov_b32 s50, s33
	s_delay_alu instid0(VALU_DEP_2)
	s_and_b32 s4, s4, s48
	s_add_u32 s48, s38, s42
	v_cndmask_b32_e64 v8, v8, s11, s4
	v_cndmask_b32_e64 v7, v7, s8, s4
	s_addc_u32 s4, s39, s43
	s_add_u32 s48, s48, s36
	s_addc_u32 s4, s4, s37
	s_add_u32 s48, s48, 8
	s_addc_u32 s49, s4, 0
	s_set_inst_prefetch_distance 0x1
	.p2align	6
.LBB16_81:                              ; =>This Inner Loop Header: Depth=1
	s_clause 0x1
	global_load_b64 v[10:11], v9, s[44:45]
	global_load_b64 v[12:13], v9, s[48:49]
	s_add_i32 s50, s50, -1
	s_waitcnt vmcnt(1)
	v_div_scale_f64 v[14:15], null, v[7:8], v[7:8], v[10:11]
	v_div_scale_f64 v[20:21], vcc_lo, v[10:11], v[7:8], v[10:11]
	s_waitcnt vmcnt(0)
	v_add_f64 v[12:13], v[12:13], -v[3:4]
	s_delay_alu instid0(VALU_DEP_3) | instskip(SKIP_2) | instid1(VALU_DEP_1)
	v_rcp_f64_e32 v[16:17], v[14:15]
	s_waitcnt_depctr 0xfff
	v_fma_f64 v[18:19], -v[14:15], v[16:17], 1.0
	v_fma_f64 v[16:17], v[16:17], v[18:19], v[16:17]
	s_delay_alu instid0(VALU_DEP_1) | instskip(NEXT) | instid1(VALU_DEP_1)
	v_fma_f64 v[18:19], -v[14:15], v[16:17], 1.0
	v_fma_f64 v[16:17], v[16:17], v[18:19], v[16:17]
	s_delay_alu instid0(VALU_DEP_1) | instskip(NEXT) | instid1(VALU_DEP_1)
	v_mul_f64 v[18:19], v[20:21], v[16:17]
	v_fma_f64 v[14:15], -v[14:15], v[18:19], v[20:21]
	s_delay_alu instid0(VALU_DEP_1) | instskip(NEXT) | instid1(VALU_DEP_1)
	v_div_fmas_f64 v[14:15], v[14:15], v[16:17], v[18:19]
	v_div_fixup_f64 v[7:8], v[14:15], v[7:8], v[10:11]
	s_delay_alu instid0(VALU_DEP_1) | instskip(NEXT) | instid1(VALU_DEP_1)
	v_add_f64 v[7:8], v[12:13], -v[7:8]
	v_cmp_ge_f64_e32 vcc_lo, s[8:9], v[7:8]
	v_cmp_gt_f64_e64 s51, v[7:8], -s[8:9]
	v_add_co_ci_u32_e64 v6, s4, 0, v6, vcc_lo
	s_delay_alu instid0(VALU_DEP_2)
	s_and_b32 s4, vcc_lo, s51
	s_add_u32 s44, s44, 8
	v_cndmask_b32_e64 v8, v8, s11, s4
	v_cndmask_b32_e64 v7, v7, s8, s4
	s_addc_u32 s45, s45, 0
	s_add_u32 s48, s48, 8
	s_addc_u32 s49, s49, 0
	s_cmp_lg_u32 s50, 0
	s_cbranch_scc1 .LBB16_81
.LBB16_82:
	s_set_inst_prefetch_distance 0x2
	v_mov_b32_e32 v7, 0
	s_clause 0x1
	global_store_b128 v7, v[1:4], s[6:7]
	global_store_b64 v7, v[5:6], s[14:15]
.LBB16_83:
	s_or_b32 exec_lo, exec_lo, s5
	v_add_nc_u32_e32 v5, 1, v0
	s_mov_b32 s5, exec_lo
	s_delay_alu instid0(VALU_DEP_1)
	v_cmpx_gt_i32_e64 s33, v5
	s_cbranch_execz .LBB16_93
; %bb.84:
	s_cmp_gt_i32 s35, 1
	v_mov_b32_e32 v6, 0
	s_cselect_b32 s11, -1, 0
	s_add_u32 s4, s38, s42
	s_addc_u32 s44, s39, s43
	s_add_u32 s4, s4, s36
	s_addc_u32 s45, s44, s37
	;; [unrolled: 2-line block ×3, first 2 shown]
	s_mov_b32 s52, 0
	s_xor_b32 s53, s9, 0x80000000
	s_branch .LBB16_86
.LBB16_85:                              ;   in Loop: Header=BB16_86 Depth=1
	s_set_inst_prefetch_distance 0x2
	v_dual_mov_b32 v10, v6 :: v_dual_lshlrev_b32 v9, 1, v5
	v_add_nc_u32_e32 v5, 0x100, v5
	s_delay_alu instid0(VALU_DEP_2) | instskip(SKIP_1) | instid1(VALU_DEP_3)
	v_lshlrev_b64 v[11:12], 3, v[9:10]
	v_lshlrev_b64 v[9:10], 2, v[9:10]
	v_cmp_le_i32_e32 vcc_lo, s33, v5
	s_delay_alu instid0(VALU_DEP_3) | instskip(NEXT) | instid1(VALU_DEP_1)
	v_add_co_u32 v11, s4, s6, v11
	v_add_co_ci_u32_e64 v12, s4, s7, v12, s4
	s_delay_alu instid0(VALU_DEP_4) | instskip(NEXT) | instid1(VALU_DEP_1)
	v_add_co_u32 v9, s4, s14, v9
	v_add_co_ci_u32_e64 v10, s4, s15, v10, s4
	s_or_b32 s52, vcc_lo, s52
	global_store_b128 v[11:12], v[1:4], off
	global_store_b64 v[9:10], v[7:8], off
	s_and_not1_b32 exec_lo, exec_lo, s52
	s_cbranch_execz .LBB16_92
.LBB16_86:                              ; =>This Loop Header: Depth=1
                                        ;     Child Loop BB16_88 Depth 2
                                        ;     Child Loop BB16_91 Depth 2
	v_lshlrev_b64 v[0:1], 3, v[5:6]
	s_delay_alu instid0(VALU_DEP_1) | instskip(NEXT) | instid1(VALU_DEP_2)
	v_add_co_u32 v2, vcc_lo, s22, v0
	v_add_co_ci_u32_e32 v3, vcc_lo, s23, v1, vcc_lo
	v_add_co_u32 v0, vcc_lo, s46, v0
	v_add_co_ci_u32_e32 v1, vcc_lo, s47, v1, vcc_lo
	global_load_b128 v[10:13], v[2:3], off offset:-8
	s_and_not1_b32 vcc_lo, exec_lo, s11
	s_clause 0x1
	global_load_b64 v[3:4], v[0:1], off
	global_load_b64 v[8:9], v6, s[46:47]
	s_waitcnt vmcnt(2)
	v_add_f64 v[10:11], |v[12:13]|, |v[10:11]|
	s_waitcnt vmcnt(1)
	s_delay_alu instid0(VALU_DEP_1) | instskip(SKIP_1) | instid1(VALU_DEP_1)
	v_add_f64 v[1:2], v[3:4], -v[10:11]
	s_waitcnt vmcnt(0)
	v_add_f64 v[12:13], v[8:9], -v[1:2]
	s_delay_alu instid0(VALU_DEP_1) | instskip(NEXT) | instid1(VALU_DEP_1)
	v_cmp_ge_f64_e64 s4, s[8:9], v[12:13]
	v_cndmask_b32_e64 v7, 0, 1, s4
	s_cbranch_vccnz .LBB16_89
; %bb.87:                               ;   in Loop: Header=BB16_86 Depth=1
	v_cmp_gt_f64_e64 s48, v[12:13], -s[8:9]
	s_mov_b64 s[50:51], s[18:19]
	s_mov_b32 s54, s33
	s_delay_alu instid0(VALU_DEP_1)
	s_and_b32 s4, s4, s48
	s_mov_b64 s[48:49], s[44:45]
	v_cndmask_b32_e64 v13, v13, s53, s4
	v_cndmask_b32_e64 v12, v12, s8, s4
	s_set_inst_prefetch_distance 0x1
	.p2align	6
.LBB16_88:                              ;   Parent Loop BB16_86 Depth=1
                                        ; =>  This Inner Loop Header: Depth=2
	s_clause 0x1
	global_load_b64 v[14:15], v6, s[50:51]
	global_load_b64 v[16:17], v6, s[48:49]
	s_add_i32 s54, s54, -1
	s_waitcnt vmcnt(1)
	v_div_scale_f64 v[18:19], null, v[12:13], v[12:13], v[14:15]
	v_div_scale_f64 v[24:25], vcc_lo, v[14:15], v[12:13], v[14:15]
	s_waitcnt vmcnt(0)
	v_add_f64 v[16:17], v[16:17], -v[1:2]
	s_delay_alu instid0(VALU_DEP_3) | instskip(SKIP_2) | instid1(VALU_DEP_1)
	v_rcp_f64_e32 v[20:21], v[18:19]
	s_waitcnt_depctr 0xfff
	v_fma_f64 v[22:23], -v[18:19], v[20:21], 1.0
	v_fma_f64 v[20:21], v[20:21], v[22:23], v[20:21]
	s_delay_alu instid0(VALU_DEP_1) | instskip(NEXT) | instid1(VALU_DEP_1)
	v_fma_f64 v[22:23], -v[18:19], v[20:21], 1.0
	v_fma_f64 v[20:21], v[20:21], v[22:23], v[20:21]
	s_delay_alu instid0(VALU_DEP_1) | instskip(NEXT) | instid1(VALU_DEP_1)
	v_mul_f64 v[22:23], v[24:25], v[20:21]
	v_fma_f64 v[18:19], -v[18:19], v[22:23], v[24:25]
	s_delay_alu instid0(VALU_DEP_1) | instskip(NEXT) | instid1(VALU_DEP_1)
	v_div_fmas_f64 v[18:19], v[18:19], v[20:21], v[22:23]
	v_div_fixup_f64 v[12:13], v[18:19], v[12:13], v[14:15]
	s_delay_alu instid0(VALU_DEP_1) | instskip(NEXT) | instid1(VALU_DEP_1)
	v_add_f64 v[12:13], v[16:17], -v[12:13]
	v_cmp_ge_f64_e32 vcc_lo, s[8:9], v[12:13]
	v_cmp_gt_f64_e64 s55, v[12:13], -s[8:9]
	v_add_co_ci_u32_e64 v7, s4, 0, v7, vcc_lo
	s_delay_alu instid0(VALU_DEP_2)
	s_and_b32 s4, vcc_lo, s55
	s_add_u32 s50, s50, 8
	v_cndmask_b32_e64 v13, v13, s53, s4
	v_cndmask_b32_e64 v12, v12, s8, s4
	s_addc_u32 s51, s51, 0
	s_add_u32 s48, s48, 8
	s_addc_u32 s49, s49, 0
	s_cmp_lg_u32 s54, 0
	s_cbranch_scc1 .LBB16_88
.LBB16_89:                              ;   in Loop: Header=BB16_86 Depth=1
	s_set_inst_prefetch_distance 0x2
	v_add_f64 v[3:4], v[3:4], v[10:11]
	s_and_not1_b32 vcc_lo, exec_lo, s11
	s_delay_alu instid0(VALU_DEP_1) | instskip(NEXT) | instid1(VALU_DEP_1)
	v_add_f64 v[9:10], v[8:9], -v[3:4]
	v_cmp_ge_f64_e64 s4, s[8:9], v[9:10]
	s_delay_alu instid0(VALU_DEP_1)
	v_cndmask_b32_e64 v8, 0, 1, s4
	s_cbranch_vccnz .LBB16_85
; %bb.90:                               ;   in Loop: Header=BB16_86 Depth=1
	v_cmp_gt_f64_e64 s48, v[9:10], -s[8:9]
	s_mov_b64 s[50:51], s[18:19]
	s_mov_b32 s54, s33
	s_delay_alu instid0(VALU_DEP_1)
	s_and_b32 s4, s4, s48
	s_mov_b64 s[48:49], s[44:45]
	v_cndmask_b32_e64 v10, v10, s53, s4
	v_cndmask_b32_e64 v9, v9, s8, s4
	s_set_inst_prefetch_distance 0x1
	.p2align	6
.LBB16_91:                              ;   Parent Loop BB16_86 Depth=1
                                        ; =>  This Inner Loop Header: Depth=2
	s_clause 0x1
	global_load_b64 v[11:12], v6, s[50:51]
	global_load_b64 v[13:14], v6, s[48:49]
	s_add_i32 s54, s54, -1
	s_waitcnt vmcnt(1)
	v_div_scale_f64 v[15:16], null, v[9:10], v[9:10], v[11:12]
	v_div_scale_f64 v[21:22], vcc_lo, v[11:12], v[9:10], v[11:12]
	s_waitcnt vmcnt(0)
	v_add_f64 v[13:14], v[13:14], -v[3:4]
	s_delay_alu instid0(VALU_DEP_3) | instskip(SKIP_2) | instid1(VALU_DEP_1)
	v_rcp_f64_e32 v[17:18], v[15:16]
	s_waitcnt_depctr 0xfff
	v_fma_f64 v[19:20], -v[15:16], v[17:18], 1.0
	v_fma_f64 v[17:18], v[17:18], v[19:20], v[17:18]
	s_delay_alu instid0(VALU_DEP_1) | instskip(NEXT) | instid1(VALU_DEP_1)
	v_fma_f64 v[19:20], -v[15:16], v[17:18], 1.0
	v_fma_f64 v[17:18], v[17:18], v[19:20], v[17:18]
	s_delay_alu instid0(VALU_DEP_1) | instskip(NEXT) | instid1(VALU_DEP_1)
	v_mul_f64 v[19:20], v[21:22], v[17:18]
	v_fma_f64 v[15:16], -v[15:16], v[19:20], v[21:22]
	s_delay_alu instid0(VALU_DEP_1) | instskip(NEXT) | instid1(VALU_DEP_1)
	v_div_fmas_f64 v[15:16], v[15:16], v[17:18], v[19:20]
	v_div_fixup_f64 v[9:10], v[15:16], v[9:10], v[11:12]
	s_delay_alu instid0(VALU_DEP_1) | instskip(NEXT) | instid1(VALU_DEP_1)
	v_add_f64 v[9:10], v[13:14], -v[9:10]
	v_cmp_ge_f64_e32 vcc_lo, s[8:9], v[9:10]
	v_cmp_gt_f64_e64 s55, v[9:10], -s[8:9]
	v_add_co_ci_u32_e64 v8, s4, 0, v8, vcc_lo
	s_delay_alu instid0(VALU_DEP_2)
	s_and_b32 s4, vcc_lo, s55
	s_add_u32 s50, s50, 8
	v_cndmask_b32_e64 v10, v10, s53, s4
	v_cndmask_b32_e64 v9, v9, s8, s4
	s_addc_u32 s51, s51, 0
	s_add_u32 s48, s48, 8
	s_addc_u32 s49, s49, 0
	s_cmp_lg_u32 s54, 0
	s_cbranch_scc1 .LBB16_91
	s_branch .LBB16_85
.LBB16_92:
	s_or_b32 exec_lo, exec_lo, s52
.LBB16_93:
	s_delay_alu instid0(SALU_CYCLE_1)
	s_or_b32 exec_lo, exec_lo, s5
	s_and_saveexec_b32 s44, s3
	s_cbranch_execz .LBB16_101
; %bb.94:
	s_ashr_i32 s5, s35, 31
	s_mov_b32 s4, s35
	v_mov_b32_e32 v0, 0
	s_lshl_b64 s[4:5], s[4:5], 3
	s_delay_alu instid0(SALU_CYCLE_1)
	s_add_u32 s48, s46, s4
	s_addc_u32 s49, s47, s5
	s_add_u32 s4, s22, s4
	s_addc_u32 s5, s23, s5
	s_clause 0x2
	global_load_b64 v[3:4], v0, s[4:5] offset:-16
	global_load_b64 v[6:7], v0, s[48:49] offset:-8
	global_load_b64 v[8:9], v0, s[46:47]
	s_cmp_gt_i32 s35, 1
	s_cselect_b32 s11, -1, 0
	s_cmp_lt_i32 s35, 2
	s_waitcnt vmcnt(1)
	v_add_f64 v[1:2], v[6:7], -|v[3:4]|
	v_and_b32_e32 v4, 0x7fffffff, v4
	s_waitcnt vmcnt(0)
	s_delay_alu instid0(VALU_DEP_2) | instskip(NEXT) | instid1(VALU_DEP_1)
	v_add_f64 v[10:11], v[8:9], -v[1:2]
	v_cmp_ge_f64_e32 vcc_lo, s[8:9], v[10:11]
	v_cndmask_b32_e64 v5, 0, 1, vcc_lo
	s_cbranch_scc1 .LBB16_97
; %bb.95:
	v_cmp_gt_f64_e64 s3, v[10:11], -s[8:9]
	s_xor_b32 s45, s9, 0x80000000
	s_mov_b64 s[4:5], s[18:19]
	s_mov_b32 s46, s33
	s_delay_alu instid0(VALU_DEP_1)
	s_and_b32 s3, vcc_lo, s3
	s_add_u32 s22, s38, s42
	v_cndmask_b32_e64 v11, v11, s45, s3
	v_cndmask_b32_e64 v10, v10, s8, s3
	s_addc_u32 s3, s39, s43
	s_add_u32 s22, s22, s36
	s_addc_u32 s3, s3, s37
	s_add_u32 s22, s22, 8
	s_addc_u32 s23, s3, 0
	s_set_inst_prefetch_distance 0x1
	.p2align	6
.LBB16_96:                              ; =>This Inner Loop Header: Depth=1
	s_clause 0x1
	global_load_b64 v[12:13], v0, s[4:5]
	global_load_b64 v[14:15], v0, s[22:23]
	s_add_i32 s46, s46, -1
	s_waitcnt vmcnt(1)
	v_div_scale_f64 v[16:17], null, v[10:11], v[10:11], v[12:13]
	v_div_scale_f64 v[22:23], vcc_lo, v[12:13], v[10:11], v[12:13]
	s_waitcnt vmcnt(0)
	v_add_f64 v[14:15], v[14:15], -v[1:2]
	s_delay_alu instid0(VALU_DEP_3) | instskip(SKIP_2) | instid1(VALU_DEP_1)
	v_rcp_f64_e32 v[18:19], v[16:17]
	s_waitcnt_depctr 0xfff
	v_fma_f64 v[20:21], -v[16:17], v[18:19], 1.0
	v_fma_f64 v[18:19], v[18:19], v[20:21], v[18:19]
	s_delay_alu instid0(VALU_DEP_1) | instskip(NEXT) | instid1(VALU_DEP_1)
	v_fma_f64 v[20:21], -v[16:17], v[18:19], 1.0
	v_fma_f64 v[18:19], v[18:19], v[20:21], v[18:19]
	s_delay_alu instid0(VALU_DEP_1) | instskip(NEXT) | instid1(VALU_DEP_1)
	v_mul_f64 v[20:21], v[22:23], v[18:19]
	v_fma_f64 v[16:17], -v[16:17], v[20:21], v[22:23]
	s_delay_alu instid0(VALU_DEP_1) | instskip(NEXT) | instid1(VALU_DEP_1)
	v_div_fmas_f64 v[16:17], v[16:17], v[18:19], v[20:21]
	v_div_fixup_f64 v[10:11], v[16:17], v[10:11], v[12:13]
	s_delay_alu instid0(VALU_DEP_1) | instskip(NEXT) | instid1(VALU_DEP_1)
	v_add_f64 v[10:11], v[14:15], -v[10:11]
	v_cmp_ge_f64_e32 vcc_lo, s[8:9], v[10:11]
	v_cmp_gt_f64_e64 s47, v[10:11], -s[8:9]
	v_add_co_ci_u32_e64 v5, s3, 0, v5, vcc_lo
	s_delay_alu instid0(VALU_DEP_2)
	s_and_b32 s3, vcc_lo, s47
	s_add_u32 s4, s4, 8
	v_cndmask_b32_e64 v11, v11, s45, s3
	v_cndmask_b32_e64 v10, v10, s8, s3
	s_addc_u32 s5, s5, 0
	s_add_u32 s22, s22, 8
	s_addc_u32 s23, s23, 0
	s_cmp_lg_u32 s46, 0
	s_cbranch_scc1 .LBB16_96
.LBB16_97:
	s_set_inst_prefetch_distance 0x2
	v_add_f64 v[3:4], v[6:7], v[3:4]
	s_and_not1_b32 vcc_lo, exec_lo, s11
	s_delay_alu instid0(VALU_DEP_1) | instskip(NEXT) | instid1(VALU_DEP_1)
	v_add_f64 v[7:8], v[8:9], -v[3:4]
	v_cmp_ge_f64_e64 s3, s[8:9], v[7:8]
	s_delay_alu instid0(VALU_DEP_1)
	v_cndmask_b32_e64 v6, 0, 1, s3
	s_cbranch_vccnz .LBB16_100
; %bb.98:
	v_cmp_gt_f64_e64 s4, v[7:8], -s[8:9]
	s_xor_b32 s11, s9, 0x80000000
	v_mov_b32_e32 v0, 0
	s_delay_alu instid0(VALU_DEP_2)
	s_and_b32 s3, s3, s4
	s_add_u32 s4, s38, s42
	v_cndmask_b32_e64 v8, v8, s11, s3
	v_cndmask_b32_e64 v7, v7, s8, s3
	s_addc_u32 s3, s39, s43
	s_add_u32 s4, s4, s36
	s_addc_u32 s3, s3, s37
	s_add_u32 s4, s4, 8
	s_addc_u32 s5, s3, 0
	s_set_inst_prefetch_distance 0x1
	.p2align	6
.LBB16_99:                              ; =>This Inner Loop Header: Depth=1
	s_clause 0x1
	global_load_b64 v[9:10], v0, s[18:19]
	global_load_b64 v[11:12], v0, s[4:5]
	s_add_i32 s33, s33, -1
	s_waitcnt vmcnt(1)
	v_div_scale_f64 v[13:14], null, v[7:8], v[7:8], v[9:10]
	v_div_scale_f64 v[19:20], vcc_lo, v[9:10], v[7:8], v[9:10]
	s_waitcnt vmcnt(0)
	v_add_f64 v[11:12], v[11:12], -v[3:4]
	s_delay_alu instid0(VALU_DEP_3) | instskip(SKIP_2) | instid1(VALU_DEP_1)
	v_rcp_f64_e32 v[15:16], v[13:14]
	s_waitcnt_depctr 0xfff
	v_fma_f64 v[17:18], -v[13:14], v[15:16], 1.0
	v_fma_f64 v[15:16], v[15:16], v[17:18], v[15:16]
	s_delay_alu instid0(VALU_DEP_1) | instskip(NEXT) | instid1(VALU_DEP_1)
	v_fma_f64 v[17:18], -v[13:14], v[15:16], 1.0
	v_fma_f64 v[15:16], v[15:16], v[17:18], v[15:16]
	s_delay_alu instid0(VALU_DEP_1) | instskip(NEXT) | instid1(VALU_DEP_1)
	v_mul_f64 v[17:18], v[19:20], v[15:16]
	v_fma_f64 v[13:14], -v[13:14], v[17:18], v[19:20]
	s_delay_alu instid0(VALU_DEP_1) | instskip(NEXT) | instid1(VALU_DEP_1)
	v_div_fmas_f64 v[13:14], v[13:14], v[15:16], v[17:18]
	v_div_fixup_f64 v[7:8], v[13:14], v[7:8], v[9:10]
	s_delay_alu instid0(VALU_DEP_1) | instskip(NEXT) | instid1(VALU_DEP_1)
	v_add_f64 v[7:8], v[11:12], -v[7:8]
	v_cmp_ge_f64_e32 vcc_lo, s[8:9], v[7:8]
	v_cmp_gt_f64_e64 s22, v[7:8], -s[8:9]
	v_add_co_ci_u32_e64 v6, s3, 0, v6, vcc_lo
	s_delay_alu instid0(VALU_DEP_2)
	s_and_b32 s3, vcc_lo, s22
	s_add_u32 s18, s18, 8
	v_cndmask_b32_e64 v8, v8, s11, s3
	v_cndmask_b32_e64 v7, v7, s8, s3
	s_addc_u32 s19, s19, 0
	s_add_u32 s4, s4, 8
	s_addc_u32 s5, s5, 0
	s_cmp_lg_u32 s33, 0
	s_cbranch_scc1 .LBB16_99
.LBB16_100:
	s_set_inst_prefetch_distance 0x2
	s_ashr_i32 s11, s10, 31
	v_mov_b32_e32 v0, 0
	s_lshl_b64 s[4:5], s[10:11], 3
	s_delay_alu instid0(SALU_CYCLE_1) | instskip(SKIP_2) | instid1(SALU_CYCLE_1)
	s_add_u32 s4, s6, s4
	s_addc_u32 s5, s7, s5
	s_lshl_b64 s[18:19], s[10:11], 2
	s_add_u32 s18, s14, s18
	s_addc_u32 s19, s15, s19
	s_clause 0x1
	global_store_b128 v0, v[1:4], s[4:5] offset:-16
	global_store_b64 v0, v[5:6], s[18:19] offset:-8
.LBB16_101:
	s_or_b32 exec_lo, exec_lo, s44
	s_waitcnt_vscnt null, 0x0
	s_barrier
	buffer_gl0_inv
	s_and_saveexec_b32 s3, s2
	s_cbranch_execz .LBB16_125
; %bb.102:
	s_cmp_gt_i32 s35, 0
	s_mov_b32 s4, 1
	s_cselect_b32 s33, -1, 0
	s_cmp_lt_i32 s35, 1
	s_cbranch_scc1 .LBB16_110
; %bb.103:
	s_cmp_lg_u64 s[28:29], 0
	v_mov_b32_e32 v4, 0
	s_cselect_b32 s11, -1, 0
	s_add_u32 s36, s6, -8
	s_addc_u32 s37, s7, -1
	s_add_u32 s38, s14, -4
	s_addc_u32 s39, s15, -1
	s_add_u32 s5, s16, s26
	s_addc_u32 s17, s17, s27
	s_add_u32 s16, s5, 8
	s_addc_u32 s17, s17, 0
	s_branch .LBB16_105
.LBB16_104:                             ;   in Loop: Header=BB16_105 Depth=1
	s_add_i32 s4, s4, 1
	s_add_u32 s16, s16, 8
	s_addc_u32 s17, s17, 0
	s_cmp_lg_u32 s4, s10
	s_cbranch_scc0 .LBB16_110
.LBB16_105:                             ; =>This Loop Header: Depth=1
                                        ;     Child Loop BB16_106 Depth 2
	s_ashr_i32 s5, s4, 31
	s_add_i32 s23, s4, -1
	s_lshl_b64 s[18:19], s[4:5], 3
	s_mov_b64 s[26:27], s[16:17]
	s_add_u32 s18, s36, s18
	s_addc_u32 s19, s37, s19
	s_mov_b32 s42, s4
	global_load_b64 v[0:1], v4, s[18:19]
	s_mov_b32 s22, s23
	s_waitcnt vmcnt(0)
	v_dual_mov_b32 v3, v1 :: v_dual_mov_b32 v2, v0
.LBB16_106:                             ;   Parent Loop BB16_105 Depth=1
                                        ; =>  This Inner Loop Header: Depth=2
	global_load_b64 v[5:6], v4, s[26:27]
	s_waitcnt vmcnt(0)
	v_cmp_lt_f64_e32 vcc_lo, v[5:6], v[2:3]
	s_and_b32 s43, vcc_lo, exec_lo
	v_dual_cndmask_b32 v3, v3, v6 :: v_dual_cndmask_b32 v2, v2, v5
	s_cselect_b32 s22, s42, s22
	s_add_i32 s42, s42, 1
	s_add_u32 s26, s26, 8
	s_addc_u32 s27, s27, 0
	s_cmp_ge_i32 s42, s10
	s_cbranch_scc0 .LBB16_106
; %bb.107:                              ;   in Loop: Header=BB16_105 Depth=1
	s_cmp_lg_u32 s22, s23
	s_cbranch_scc0 .LBB16_104
; %bb.108:                              ;   in Loop: Header=BB16_105 Depth=1
	s_ashr_i32 s23, s22, 31
	s_delay_alu instid0(SALU_CYCLE_1) | instskip(NEXT) | instid1(SALU_CYCLE_1)
	s_lshl_b64 s[26:27], s[22:23], 3
	s_add_u32 s26, s6, s26
	s_addc_u32 s27, s7, s27
	s_and_not1_b32 vcc_lo, exec_lo, s11
	s_clause 0x1
	global_store_b64 v4, v[0:1], s[26:27]
	global_store_b64 v4, v[2:3], s[18:19]
	s_cbranch_vccnz .LBB16_104
; %bb.109:                              ;   in Loop: Header=BB16_105 Depth=1
	s_lshl_b64 s[18:19], s[4:5], 2
	s_delay_alu instid0(SALU_CYCLE_1) | instskip(SKIP_2) | instid1(SALU_CYCLE_1)
	s_add_u32 s18, s38, s18
	s_addc_u32 s19, s39, s19
	s_lshl_b64 s[22:23], s[22:23], 2
	s_add_u32 s22, s14, s22
	s_addc_u32 s23, s15, s23
	s_clause 0x1
	global_load_b32 v0, v4, s[18:19]
	global_load_b32 v1, v4, s[22:23]
	s_waitcnt vmcnt(1)
	global_store_b32 v4, v0, s[22:23]
	s_waitcnt vmcnt(0)
	global_store_b32 v4, v1, s[18:19]
	s_branch .LBB16_104
.LBB16_110:
	s_ashr_i32 s11, s10, 31
	v_mov_b32_e32 v0, 0
	s_lshl_b64 s[4:5], s[10:11], 3
	v_cvt_f64_i32_e32 v[7:8], s35
	s_add_u32 s4, s6, s4
	s_addc_u32 s5, s7, s5
	s_clause 0x1
	global_load_b64 v[1:2], v0, s[6:7]
	global_load_b64 v[3:4], v0, s[4:5] offset:-8
	s_load_b64 s[0:1], s[0:1], 0x18
	s_waitcnt vmcnt(0)
	v_cmp_lt_f64_e64 vcc_lo, |v[1:2]|, |v[3:4]|
	v_dual_cndmask_b32 v5, v1, v3 :: v_dual_cndmask_b32 v6, v2, v4
	s_and_not1_b32 vcc_lo, exec_lo, s33
	s_delay_alu instid0(VALU_DEP_1) | instskip(NEXT) | instid1(VALU_DEP_1)
	v_mul_f64 v[5:6], |v[5:6]|, s[30:31]
	v_fma_f64 v[1:2], -v[5:6], v[7:8], v[1:2]
	v_fma_f64 v[3:4], v[5:6], v[7:8], v[3:4]
	s_delay_alu instid0(VALU_DEP_2) | instskip(NEXT) | instid1(VALU_DEP_2)
	v_add_f64 v[1:2], v[1:2], -s[8:9]
	v_add_f64 v[4:5], s[8:9], v[3:4]
	v_cndmask_b32_e64 v3, 0, 1, s33
	s_clause 0x1
	global_store_b64 v0, v[1:2], s[6:7]
	global_store_b64 v0, v[4:5], s[4:5] offset:-8
	s_cbranch_vccnz .LBB16_116
; %bb.111:
	s_max_i32 s11, s10, 2
	s_mov_b32 s15, 0
	s_add_i32 s11, s11, -1
	s_add_u32 s4, s12, s28
	s_addc_u32 s5, s13, s29
	s_add_u32 s4, s4, 4
	s_addc_u32 s5, s5, 0
	s_branch .LBB16_113
	.p2align	6
.LBB16_112:                             ;   in Loop: Header=BB16_113 Depth=1
	s_add_i32 s15, s15, 1
	s_add_u32 s4, s4, 4
	s_addc_u32 s5, s5, 0
	s_cmp_eq_u32 s11, s15
	s_mov_b32 s14, s11
	s_cselect_b32 s16, -1, 0
	s_delay_alu instid0(SALU_CYCLE_1)
	s_and_not1_b32 vcc_lo, exec_lo, s16
	s_cbranch_vccz .LBB16_115
.LBB16_113:                             ; =>This Inner Loop Header: Depth=1
	global_load_b32 v1, v0, s[4:5]
	s_waitcnt vmcnt(0) lgkmcnt(0)
	v_cmp_le_i32_e32 vcc_lo, s0, v1
	s_cbranch_vccz .LBB16_112
; %bb.114:
	s_mov_b32 s14, s15
                                        ; implicit-def: $sgpr4_sgpr5
.LBB16_115:
	s_mov_b32 s15, 0
	s_branch .LBB16_117
.LBB16_116:
	s_mov_b64 s[14:15], 0
.LBB16_117:
	s_delay_alu instid0(SALU_CYCLE_1)
	s_lshl_b64 s[4:5], s[14:15], 3
	v_mov_b32_e32 v0, 0
	s_add_u32 s4, s6, s4
	s_addc_u32 s5, s7, s5
	v_cmp_ne_u32_e32 vcc_lo, 1, v3
	s_mov_b32 s11, 1
	global_load_b64 v[1:2], v0, s[4:5]
	s_cbranch_vccnz .LBB16_123
; %bb.118:
	s_max_i32 s10, s10, 2
	s_delay_alu instid0(SALU_CYCLE_1)
	s_add_i32 s14, s10, -1
	s_waitcnt lgkmcnt(0)
	s_add_u32 s0, s12, s28
	s_addc_u32 s5, s13, s29
	s_add_u32 s4, s0, 4
	s_addc_u32 s5, s5, 0
	s_branch .LBB16_120
	.p2align	6
.LBB16_119:
	s_mov_b32 s0, s11
                                        ; implicit-def: $sgpr4_sgpr5
	s_branch .LBB16_122
.LBB16_120:                             ; =>This Inner Loop Header: Depth=1
	global_load_b32 v3, v0, s[4:5]
	s_waitcnt vmcnt(0)
	v_cmp_gt_i32_e32 vcc_lo, s1, v3
	s_cbranch_vccz .LBB16_119
; %bb.121:                              ;   in Loop: Header=BB16_120 Depth=1
	s_add_i32 s11, s11, 1
	s_add_u32 s4, s4, 4
	s_addc_u32 s5, s5, 0
	s_cmp_eq_u32 s10, s11
	s_mov_b32 s0, s14
	s_cselect_b32 s12, -1, 0
	s_delay_alu instid0(SALU_CYCLE_1)
	s_and_not1_b32 vcc_lo, exec_lo, s12
	s_cbranch_vccnz .LBB16_120
.LBB16_122:
	s_ashr_i32 s1, s0, 31
	s_branch .LBB16_124
.LBB16_123:
	s_waitcnt lgkmcnt(0)
	s_mov_b64 s[0:1], 0
.LBB16_124:
	s_delay_alu instid0(SALU_CYCLE_1)
	s_lshl_b64 s[0:1], s[0:1], 3
	v_mov_b32_e32 v0, 0
	s_add_u32 s0, s6, s0
	s_addc_u32 s1, s7, s1
	global_load_b64 v[3:4], v0, s[0:1]
.LBB16_125:
	s_or_b32 exec_lo, exec_lo, s3
	s_and_saveexec_b32 s0, s2
	s_cbranch_execz .LBB16_74
.LBB16_126:
	s_lshl_b64 s[0:1], s[40:41], 3
	v_dual_mov_b32 v0, 0 :: v_dual_mov_b32 v5, s8
	s_add_u32 s0, s20, s0
	s_addc_u32 s1, s21, s1
	s_lshl_b32 s2, s40, 1
	v_mov_b32_e32 v6, s9
	s_ashr_i32 s3, s2, 31
	s_delay_alu instid0(SALU_CYCLE_1) | instskip(NEXT) | instid1(SALU_CYCLE_1)
	s_lshl_b64 s[2:3], s[2:3], 3
	s_add_u32 s2, s24, s2
	s_addc_u32 s3, s25, s3
	s_cmpk_eq_i32 s34, 0xe7
	s_cselect_b32 s4, -1, 0
	s_waitcnt vmcnt(0)
	v_cndmask_b32_e64 v4, v4, 0, s4
	v_cndmask_b32_e64 v3, v3, 0, s4
	;; [unrolled: 1-line block ×4, first 2 shown]
	s_clause 0x1
	global_store_b64 v0, v[5:6], s[0:1]
	global_store_b128 v0, v[1:4], s[2:3]
	s_nop 0
	s_sendmsg sendmsg(MSG_DEALLOC_VGPRS)
	s_endpgm
	.section	.rodata,"a",@progbits
	.p2align	6, 0x0
	.amdhsa_kernel _ZN9rocsolver6v33100L22stebz_splitting_kernelIdPdEEv15rocblas_erange_iT_S4_iiT0_iiS5_iiPiPS4_lS6_lS6_S7_S7_S7_S7_S6_S4_S4_
		.amdhsa_group_segment_fixed_size 3072
		.amdhsa_private_segment_fixed_size 0
		.amdhsa_kernarg_size 168
		.amdhsa_user_sgpr_count 14
		.amdhsa_user_sgpr_dispatch_ptr 0
		.amdhsa_user_sgpr_queue_ptr 0
		.amdhsa_user_sgpr_kernarg_segment_ptr 1
		.amdhsa_user_sgpr_dispatch_id 0
		.amdhsa_user_sgpr_private_segment_size 0
		.amdhsa_wavefront_size32 1
		.amdhsa_uses_dynamic_stack 0
		.amdhsa_enable_private_segment 0
		.amdhsa_system_sgpr_workgroup_id_x 1
		.amdhsa_system_sgpr_workgroup_id_y 1
		.amdhsa_system_sgpr_workgroup_id_z 0
		.amdhsa_system_sgpr_workgroup_info 0
		.amdhsa_system_vgpr_workitem_id 0
		.amdhsa_next_free_vgpr 26
		.amdhsa_next_free_sgpr 56
		.amdhsa_reserve_vcc 1
		.amdhsa_float_round_mode_32 0
		.amdhsa_float_round_mode_16_64 0
		.amdhsa_float_denorm_mode_32 3
		.amdhsa_float_denorm_mode_16_64 3
		.amdhsa_dx10_clamp 1
		.amdhsa_ieee_mode 1
		.amdhsa_fp16_overflow 0
		.amdhsa_workgroup_processor_mode 1
		.amdhsa_memory_ordered 1
		.amdhsa_forward_progress 0
		.amdhsa_shared_vgpr_count 0
		.amdhsa_exception_fp_ieee_invalid_op 0
		.amdhsa_exception_fp_denorm_src 0
		.amdhsa_exception_fp_ieee_div_zero 0
		.amdhsa_exception_fp_ieee_overflow 0
		.amdhsa_exception_fp_ieee_underflow 0
		.amdhsa_exception_fp_ieee_inexact 0
		.amdhsa_exception_int_div_zero 0
	.end_amdhsa_kernel
	.section	.text._ZN9rocsolver6v33100L22stebz_splitting_kernelIdPdEEv15rocblas_erange_iT_S4_iiT0_iiS5_iiPiPS4_lS6_lS6_S7_S7_S7_S7_S6_S4_S4_,"axG",@progbits,_ZN9rocsolver6v33100L22stebz_splitting_kernelIdPdEEv15rocblas_erange_iT_S4_iiT0_iiS5_iiPiPS4_lS6_lS6_S7_S7_S7_S7_S6_S4_S4_,comdat
.Lfunc_end16:
	.size	_ZN9rocsolver6v33100L22stebz_splitting_kernelIdPdEEv15rocblas_erange_iT_S4_iiT0_iiS5_iiPiPS4_lS6_lS6_S7_S7_S7_S7_S6_S4_S4_, .Lfunc_end16-_ZN9rocsolver6v33100L22stebz_splitting_kernelIdPdEEv15rocblas_erange_iT_S4_iiT0_iiS5_iiPiPS4_lS6_lS6_S7_S7_S7_S7_S6_S4_S4_
                                        ; -- End function
	.section	.AMDGPU.csdata,"",@progbits
; Kernel info:
; codeLenInByte = 6732
; NumSgprs: 58
; NumVgprs: 26
; ScratchSize: 0
; MemoryBound: 0
; FloatMode: 240
; IeeeMode: 1
; LDSByteSize: 3072 bytes/workgroup (compile time only)
; SGPRBlocks: 7
; VGPRBlocks: 3
; NumSGPRsForWavesPerEU: 58
; NumVGPRsForWavesPerEU: 26
; Occupancy: 16
; WaveLimiterHint : 0
; COMPUTE_PGM_RSRC2:SCRATCH_EN: 0
; COMPUTE_PGM_RSRC2:USER_SGPR: 14
; COMPUTE_PGM_RSRC2:TRAP_HANDLER: 0
; COMPUTE_PGM_RSRC2:TGID_X_EN: 1
; COMPUTE_PGM_RSRC2:TGID_Y_EN: 1
; COMPUTE_PGM_RSRC2:TGID_Z_EN: 0
; COMPUTE_PGM_RSRC2:TIDIG_COMP_CNT: 0
	.section	.text._ZN9rocsolver6v33100L22stebz_bisection_kernelIdPdEEv15rocblas_erange_iT_T0_iiS5_iiPiPS4_lS6_lS6_lS6_S6_S7_S7_S7_S7_S6_S4_S4_,"axG",@progbits,_ZN9rocsolver6v33100L22stebz_bisection_kernelIdPdEEv15rocblas_erange_iT_T0_iiS5_iiPiPS4_lS6_lS6_lS6_S6_S7_S7_S7_S7_S6_S4_S4_,comdat
	.globl	_ZN9rocsolver6v33100L22stebz_bisection_kernelIdPdEEv15rocblas_erange_iT_T0_iiS5_iiPiPS4_lS6_lS6_lS6_S6_S7_S7_S7_S7_S6_S4_S4_ ; -- Begin function _ZN9rocsolver6v33100L22stebz_bisection_kernelIdPdEEv15rocblas_erange_iT_T0_iiS5_iiPiPS4_lS6_lS6_lS6_S6_S7_S7_S7_S7_S6_S4_S4_
	.p2align	8
	.type	_ZN9rocsolver6v33100L22stebz_bisection_kernelIdPdEEv15rocblas_erange_iT_T0_iiS5_iiPiPS4_lS6_lS6_lS6_S6_S7_S7_S7_S7_S6_S4_S4_,@function
_ZN9rocsolver6v33100L22stebz_bisection_kernelIdPdEEv15rocblas_erange_iT_T0_iiS5_iiPiPS4_lS6_lS6_lS6_S6_S7_S7_S7_S7_S6_S4_S4_: ; @_ZN9rocsolver6v33100L22stebz_bisection_kernelIdPdEEv15rocblas_erange_iT_T0_iiS5_iiPiPS4_lS6_lS6_lS6_S6_S7_S7_S7_S7_S6_S4_S4_
; %bb.0:
	s_load_b512 s[16:31], s[0:1], 0x30
	s_mov_b32 s2, s15
	s_ashr_i32 s3, s15, 31
	s_delay_alu instid0(SALU_CYCLE_1)
	s_lshl_b64 s[34:35], s[2:3], 2
	s_waitcnt lgkmcnt(0)
	s_add_u32 s4, s16, s34
	s_addc_u32 s5, s17, s35
	s_load_b32 s33, s[4:5], 0x0
	s_waitcnt lgkmcnt(0)
	s_cmp_ge_i32 s14, s33
	s_cbranch_scc1 .LBB17_98
; %bb.1:
	s_clause 0x3
	s_load_b256 s[36:43], s[0:1], 0x8
	s_load_b64 s[4:5], s[0:1], 0x28
	s_load_b64 s[12:13], s[0:1], 0x0
	s_load_b256 s[44:51], s[0:1], 0x70
	s_mul_i32 s7, s2, s21
	s_mul_hi_u32 s15, s2, s20
	s_mul_i32 s21, s3, s20
	s_mul_i32 s6, s2, s20
	v_lshl_or_b32 v19, v0, 2, 0x1800
	v_lshl_or_b32 v21, v0, 4, 0x1000
	v_dual_mov_b32 v22, 0 :: v_dual_mov_b32 v23, 1
                                        ; implicit-def: $vgpr24
                                        ; implicit-def: $vgpr25
                                        ; implicit-def: $vgpr26
                                        ; implicit-def: $vgpr27
                                        ; implicit-def: $vgpr28
	s_waitcnt lgkmcnt(0)
	s_mul_hi_i32 s11, s41, s2
	s_mul_i32 s10, s41, s2
	s_ashr_i32 s9, s40, 31
	s_lshl_b64 s[52:53], s[10:11], 3
	s_mov_b32 s8, s40
	s_add_u32 s17, s38, s52
	s_addc_u32 s20, s39, s53
	s_lshl_b64 s[56:57], s[8:9], 3
	s_mul_hi_i32 s11, s5, s2
	s_mul_i32 s10, s5, s2
	s_add_u32 s60, s17, s56
	s_addc_u32 s61, s20, s57
	s_lshl_b64 s[54:55], s[10:11], 3
	s_mov_b32 s16, s4
	s_ashr_i32 s17, s4, 31
	s_add_u32 s4, s42, s54
	s_addc_u32 s5, s43, s55
	s_lshl_b64 s[58:59], s[16:17], 3
	s_mul_i32 s8, s2, s25
	s_add_u32 s62, s4, s58
	s_addc_u32 s63, s5, s59
	s_add_i32 s4, s15, s7
	s_mul_hi_u32 s9, s2, s24
	s_add_i32 s7, s4, s21
	s_mul_i32 s10, s3, s24
	s_lshl_b64 s[4:5], s[6:7], 3
	s_mul_i32 s6, s2, s24
	s_add_u32 s64, s18, s4
	s_addc_u32 s65, s19, s5
	s_add_i32 s4, s9, s8
	s_mul_i32 s8, s2, s29
	s_add_i32 s7, s4, s10
	s_mul_hi_u32 s9, s2, s28
	s_lshl_b64 s[4:5], s[6:7], 2
	s_mul_i32 s6, s3, s28
	s_add_u32 s66, s22, s4
	s_addc_u32 s67, s23, s5
	s_add_i32 s5, s9, s8
	s_mul_i32 s4, s2, s28
	s_add_i32 s5, s5, s6
	s_mov_b32 s20, 0x55555555
	s_lshl_b64 s[4:5], s[4:5], 2
	s_mov_b32 s21, 0x3fe55555
	s_add_u32 s68, s26, s4
	s_addc_u32 s69, s27, s5
	s_add_i32 s4, s13, -1
	s_mov_b32 s24, 0xbf559e2b
	s_mul_i32 s4, s4, s2
	s_mov_b32 s25, 0x3fc3ab76
	s_ashr_i32 s5, s4, 31
	s_mov_b32 s26, 0xd7f4df2e
	s_lshl_b64 s[4:5], s[4:5], 3
	s_mov_b32 s27, 0x3fc7474d
	s_add_u32 s70, s48, s4
	s_addc_u32 s71, s49, s5
	s_lshl_b32 s4, s2, 1
	s_mov_b32 s28, 0x16291751
	s_ashr_i32 s5, s4, 31
	s_mov_b32 s29, 0x3fcc71c0
	s_lshl_b64 s[4:5], s[4:5], 3
	s_mov_b32 s40, 0x55555780
	s_add_u32 s16, s50, s4
	s_addc_u32 s17, s51, s5
	s_lshl_b64 s[4:5], s[2:3], 3
	s_mov_b32 s41, s21
	s_add_u32 s4, s46, s4
	s_addc_u32 s5, s47, s5
	s_mov_b32 s46, 0x3b39803f
	s_load_b64 s[18:19], s[4:5], 0x0
	s_load_b256 s[4:11], s[0:1], 0x90
	s_mul_i32 s0, s2, s13
	s_waitcnt lgkmcnt(0)
	s_add_u32 s10, s30, s34
	s_addc_u32 s11, s31, s35
	s_lshl_b32 s2, s0, 2
	s_mov_b32 s30, 0x9b27acf1
	s_ashr_i32 s3, s2, 31
	s_mov_b32 s31, 0x3fd24924
	s_lshl_b64 s[22:23], s[2:3], 3
	s_mov_b32 s34, 0x998ef7b6
	s_mov_b32 s35, 0x3fd99999
	;; [unrolled: 1-line block ×3, first 2 shown]
	v_frexp_mant_f64_e32 v[1:2], s[18:19]
	s_add_u32 s72, s4, s22
	s_addc_u32 s73, s5, s23
	s_lshl_b64 s[2:3], s[2:3], 2
	v_frexp_exp_i32_f64_e32 v3, s[18:19]
	s_add_u32 s74, s6, s2
	s_addc_u32 s75, s7, s3
	s_ashr_i32 s1, s0, 31
	s_mov_b32 s6, 0
	s_lshl_b64 s[0:1], s[0:1], 2
	s_mov_b32 s22, 0x6b47b09a
	s_add_u32 s76, s44, s0
	s_addc_u32 s77, s45, s1
	s_cmpk_lg_i32 s12, 0xe7
	s_mov_b32 s23, 0x3fc38538
	s_cselect_b32 s12, -1, 0
	s_mov_b32 s44, 0xfefa39ef
	s_mov_b32 s45, 0x3fe62e42
	v_cmp_class_f64_e64 s3, s[18:19], 0x204
	v_cmp_eq_u32_e64 s1, 0, v0
	v_cmp_ne_u32_e64 s2, 0, v0
	v_cmp_gt_f64_e32 vcc_lo, s[20:21], v[1:2]
	s_and_b32 s0, vcc_lo, exec_lo
	s_cselect_b32 s7, 2.0, 0x3ff00000
	v_subrev_co_ci_u32_e64 v15, s0, 0, v3, vcc_lo
	v_mul_f64 v[1:2], v[1:2], s[6:7]
	v_cmp_nlt_f64_e64 vcc_lo, s[18:19], 0
	v_cmp_lt_f64_e64 s0, s[36:37], 0
	s_add_u32 s78, s68, -4
	s_addc_u32 s79, s69, -1
	s_add_u32 s4, s52, s56
	s_addc_u32 s5, s53, s57
	s_add_u32 s4, s4, s38
	s_addc_u32 s5, s5, s39
	;; [unrolled: 2-line block ×3, first 2 shown]
	s_delay_alu instid0(VALU_DEP_3) | instskip(SKIP_1) | instid1(VALU_DEP_2)
	v_add_f64 v[3:4], v[1:2], 1.0
	v_add_f64 v[9:10], v[1:2], -1.0
	v_rcp_f64_e32 v[5:6], v[3:4]
	v_add_f64 v[11:12], v[3:4], -1.0
	s_delay_alu instid0(VALU_DEP_1) | instskip(SKIP_2) | instid1(VALU_DEP_1)
	v_add_f64 v[1:2], v[1:2], -v[11:12]
	s_waitcnt_depctr 0xfff
	v_fma_f64 v[7:8], -v[3:4], v[5:6], 1.0
	v_fma_f64 v[5:6], v[7:8], v[5:6], v[5:6]
	s_delay_alu instid0(VALU_DEP_1) | instskip(NEXT) | instid1(VALU_DEP_1)
	v_fma_f64 v[7:8], -v[3:4], v[5:6], 1.0
	v_fma_f64 v[5:6], v[7:8], v[5:6], v[5:6]
	s_delay_alu instid0(VALU_DEP_1) | instskip(NEXT) | instid1(VALU_DEP_1)
	v_mul_f64 v[7:8], v[9:10], v[5:6]
	v_mul_f64 v[13:14], v[3:4], v[7:8]
	s_delay_alu instid0(VALU_DEP_1) | instskip(NEXT) | instid1(VALU_DEP_1)
	v_fma_f64 v[3:4], v[7:8], v[3:4], -v[13:14]
	v_fma_f64 v[1:2], v[7:8], v[1:2], v[3:4]
	s_delay_alu instid0(VALU_DEP_1) | instskip(NEXT) | instid1(VALU_DEP_1)
	v_add_f64 v[3:4], v[13:14], v[1:2]
	v_add_f64 v[11:12], v[9:10], -v[3:4]
	v_add_f64 v[13:14], v[3:4], -v[13:14]
	s_delay_alu instid0(VALU_DEP_2) | instskip(NEXT) | instid1(VALU_DEP_2)
	v_add_f64 v[9:10], v[9:10], -v[11:12]
	v_add_f64 v[1:2], v[13:14], -v[1:2]
	s_delay_alu instid0(VALU_DEP_2) | instskip(NEXT) | instid1(VALU_DEP_1)
	v_add_f64 v[3:4], v[9:10], -v[3:4]
	v_add_f64 v[1:2], v[1:2], v[3:4]
	s_delay_alu instid0(VALU_DEP_1) | instskip(NEXT) | instid1(VALU_DEP_1)
	v_add_f64 v[1:2], v[11:12], v[1:2]
	v_mul_f64 v[1:2], v[5:6], v[1:2]
	s_delay_alu instid0(VALU_DEP_1) | instskip(NEXT) | instid1(VALU_DEP_1)
	v_add_f64 v[3:4], v[7:8], v[1:2]
	v_mul_f64 v[5:6], v[3:4], v[3:4]
	s_delay_alu instid0(VALU_DEP_1) | instskip(SKIP_1) | instid1(VALU_DEP_2)
	v_fma_f64 v[9:10], v[5:6], s[24:25], s[22:23]
	v_mul_f64 v[11:12], v[3:4], v[5:6]
	v_fma_f64 v[9:10], v[5:6], v[9:10], s[26:27]
	s_delay_alu instid0(VALU_DEP_1) | instskip(NEXT) | instid1(VALU_DEP_1)
	v_fma_f64 v[9:10], v[5:6], v[9:10], s[28:29]
	v_fma_f64 v[9:10], v[5:6], v[9:10], s[30:31]
	s_delay_alu instid0(VALU_DEP_1) | instskip(NEXT) | instid1(VALU_DEP_1)
	v_fma_f64 v[9:10], v[5:6], v[9:10], s[34:35]
	v_fma_f64 v[5:6], v[5:6], v[9:10], s[40:41]
	v_ldexp_f64 v[9:10], v[3:4], 1
	v_add_f64 v[3:4], v[3:4], -v[7:8]
	s_delay_alu instid0(VALU_DEP_3) | instskip(SKIP_1) | instid1(VALU_DEP_3)
	v_mul_f64 v[5:6], v[11:12], v[5:6]
	v_cvt_f64_i32_e32 v[11:12], v15
	v_add_f64 v[1:2], v[1:2], -v[3:4]
	s_delay_alu instid0(VALU_DEP_3) | instskip(NEXT) | instid1(VALU_DEP_3)
	v_add_f64 v[7:8], v[9:10], v[5:6]
	v_mul_f64 v[13:14], v[11:12], s[44:45]
	s_delay_alu instid0(VALU_DEP_3) | instskip(NEXT) | instid1(VALU_DEP_3)
	v_ldexp_f64 v[1:2], v[1:2], 1
	v_add_f64 v[3:4], v[7:8], -v[9:10]
	s_delay_alu instid0(VALU_DEP_3) | instskip(NEXT) | instid1(VALU_DEP_2)
	v_fma_f64 v[9:10], v[11:12], s[44:45], -v[13:14]
	v_add_f64 v[3:4], v[5:6], -v[3:4]
	s_delay_alu instid0(VALU_DEP_2) | instskip(NEXT) | instid1(VALU_DEP_2)
	v_fma_f64 v[5:6], v[11:12], s[46:47], v[9:10]
	v_add_f64 v[1:2], v[1:2], v[3:4]
	s_delay_alu instid0(VALU_DEP_2) | instskip(NEXT) | instid1(VALU_DEP_2)
	v_add_f64 v[3:4], v[13:14], v[5:6]
	v_add_f64 v[9:10], v[7:8], v[1:2]
	s_delay_alu instid0(VALU_DEP_2) | instskip(NEXT) | instid1(VALU_DEP_2)
	v_add_f64 v[13:14], v[3:4], -v[13:14]
	v_add_f64 v[11:12], v[3:4], v[9:10]
	v_add_f64 v[7:8], v[9:10], -v[7:8]
	s_delay_alu instid0(VALU_DEP_3) | instskip(NEXT) | instid1(VALU_DEP_3)
	v_add_f64 v[5:6], v[5:6], -v[13:14]
	v_add_f64 v[15:16], v[11:12], -v[3:4]
	s_delay_alu instid0(VALU_DEP_3) | instskip(NEXT) | instid1(VALU_DEP_2)
	v_add_f64 v[1:2], v[1:2], -v[7:8]
	v_add_f64 v[17:18], v[11:12], -v[15:16]
	;; [unrolled: 1-line block ×3, first 2 shown]
	s_delay_alu instid0(VALU_DEP_3) | instskip(NEXT) | instid1(VALU_DEP_3)
	v_add_f64 v[9:10], v[5:6], v[1:2]
	v_add_f64 v[3:4], v[3:4], -v[17:18]
	s_delay_alu instid0(VALU_DEP_1) | instskip(NEXT) | instid1(VALU_DEP_3)
	v_add_f64 v[3:4], v[7:8], v[3:4]
	v_add_f64 v[7:8], v[9:10], -v[5:6]
	s_delay_alu instid0(VALU_DEP_2) | instskip(NEXT) | instid1(VALU_DEP_2)
	v_add_f64 v[3:4], v[9:10], v[3:4]
	v_add_f64 v[9:10], v[9:10], -v[7:8]
	v_add_f64 v[1:2], v[1:2], -v[7:8]
	s_delay_alu instid0(VALU_DEP_3) | instskip(NEXT) | instid1(VALU_DEP_3)
	v_add_f64 v[13:14], v[11:12], v[3:4]
	v_add_f64 v[5:6], v[5:6], -v[9:10]
	s_delay_alu instid0(VALU_DEP_2) | instskip(NEXT) | instid1(VALU_DEP_2)
	v_add_f64 v[7:8], v[13:14], -v[11:12]
	v_add_f64 v[1:2], v[1:2], v[5:6]
	s_delay_alu instid0(VALU_DEP_2) | instskip(NEXT) | instid1(VALU_DEP_1)
	v_add_f64 v[3:4], v[3:4], -v[7:8]
	v_add_f64 v[1:2], v[1:2], v[3:4]
	s_delay_alu instid0(VALU_DEP_1) | instskip(SKIP_1) | instid1(VALU_DEP_2)
	v_add_f64 v[1:2], v[13:14], v[1:2]
	v_add_f64 v[13:14], s[8:9], s[8:9]
	v_cndmask_b32_e64 v2, v2, s19, s3
	s_delay_alu instid0(VALU_DEP_3)
	v_cndmask_b32_e64 v1, v1, s18, s3
	s_add_u32 s3, s54, s58
	s_addc_u32 s4, s55, s59
	s_add_u32 s3, s3, s42
	v_cndmask_b32_e32 v2, 0x7ff80000, v2, vcc_lo
	v_cmp_nle_f64_e64 vcc_lo, s[18:19], 0
	v_lshlrev_b32_e32 v20, 5, v0
	s_addc_u32 s4, s4, s43
	s_add_u32 s82, s3, 8
	s_addc_u32 s83, s4, 0
	v_cndmask_b32_e32 v15, 0, v1, vcc_lo
	v_cmp_neq_f64_e64 vcc_lo, s[18:19], 0
	v_cndmask_b32_e32 v16, 0xfff00000, v2, vcc_lo
	s_branch .LBB17_4
.LBB17_2:                               ;   in Loop: Header=BB17_4 Depth=1
	s_or_b32 exec_lo, exec_lo, s3
	v_dual_mov_b32 v4, v28 :: v_dual_mov_b32 v31, v27
	v_dual_mov_b32 v29, v26 :: v_dual_mov_b32 v32, v25
	v_mov_b32_e32 v30, v24
.LBB17_3:                               ;   in Loop: Header=BB17_4 Depth=1
	s_delay_alu instid0(VALU_DEP_1) | instskip(NEXT) | instid1(VALU_DEP_3)
	v_dual_mov_b32 v24, v30 :: v_dual_mov_b32 v25, v32
	v_dual_mov_b32 v26, v29 :: v_dual_mov_b32 v27, v31
	v_mov_b32_e32 v28, v4
	s_add_i32 s14, s14, 64
	s_waitcnt vmcnt(0)
	s_waitcnt_vscnt null, 0x0
	s_cmp_lt_i32 s14, s33
	s_barrier
	buffer_gl0_inv
	s_cbranch_scc0 .LBB17_98
.LBB17_4:                               ; =>This Loop Header: Depth=1
                                        ;     Child Loop BB17_9 Depth 2
                                        ;     Child Loop BB17_22 Depth 2
	;; [unrolled: 1-line block ×4, first 2 shown]
                                        ;       Child Loop BB17_42 Depth 3
                                        ;         Child Loop BB17_45 Depth 4
                                        ;         Child Loop BB17_58 Depth 4
                                        ;     Child Loop BB17_77 Depth 2
                                        ;       Child Loop BB17_79 Depth 3
	s_ashr_i32 s15, s14, 31
	s_cmp_eq_u32 s14, 0
	s_mov_b32 s38, 0
	s_cbranch_scc1 .LBB17_6
; %bb.5:                                ;   in Loop: Header=BB17_4 Depth=1
	s_lshl_b64 s[4:5], s[14:15], 2
	s_delay_alu instid0(SALU_CYCLE_1)
	s_add_u32 s4, s78, s4
	s_addc_u32 s5, s79, s5
	global_load_b32 v1, v22, s[4:5]
	s_waitcnt vmcnt(0)
	v_readfirstlane_b32 s38, v1
.LBB17_6:                               ;   in Loop: Header=BB17_4 Depth=1
	s_lshl_b64 s[42:43], s[14:15], 2
	s_delay_alu instid0(SALU_CYCLE_1) | instskip(SKIP_4) | instid1(VALU_DEP_1)
	s_add_u32 s4, s68, s42
	s_addc_u32 s5, s69, s43
	global_load_b32 v1, v22, s[4:5]
	s_waitcnt vmcnt(0)
	v_readfirstlane_b32 s3, v1
	s_sub_i32 s15, s3, s38
	s_delay_alu instid0(SALU_CYCLE_1)
	s_cmp_lg_u32 s15, 1
	s_cbranch_scc0 .LBB17_16
; %bb.7:                                ;   in Loop: Header=BB17_4 Depth=1
	s_ashr_i32 s39, s38, 31
	s_delay_alu instid0(SALU_CYCLE_1) | instskip(NEXT) | instid1(SALU_CYCLE_1)
	s_lshl_b64 s[4:5], s[38:39], 3
	s_add_u32 s48, s60, s4
	s_addc_u32 s49, s61, s5
	s_add_u32 s50, s62, s4
	s_addc_u32 s51, s63, s5
	s_clause 0x1
	global_load_b64 v[9:10], v22, s[48:49]
	global_load_b64 v[5:6], v22, s[50:51]
	s_cmp_lt_i32 s15, 3
	s_waitcnt vmcnt(0)
	v_add_f64 v[1:2], v[9:10], -|v[5:6]|
	v_add_f64 v[3:4], v[9:10], |v[5:6]|
	v_and_b32_e32 v6, 0x7fffffff, v6
	s_cbranch_scc1 .LBB17_10
; %bb.8:                                ;   in Loop: Header=BB17_4 Depth=1
	s_add_i32 s7, s15, -2
	s_add_u32 s50, s80, s4
	s_addc_u32 s51, s81, s5
	s_add_u32 s52, s82, s4
	s_addc_u32 s53, s83, s5
	.p2align	6
.LBB17_9:                               ;   Parent Loop BB17_4 Depth=1
                                        ; =>  This Inner Loop Header: Depth=2
	s_clause 0x1
	global_load_b64 v[7:8], v22, s[50:51]
	global_load_b64 v[11:12], v22, s[52:53]
	s_add_i32 s7, s7, -1
	s_add_u32 s50, s50, 8
	s_addc_u32 s51, s51, 0
	s_add_u32 s52, s52, 8
	s_addc_u32 s53, s53, 0
	s_cmp_lg_u32 s7, 0
	s_waitcnt vmcnt(1)
	v_add_f64 v[17:18], v[7:8], -v[5:6]
	v_add_f64 v[5:6], v[5:6], v[7:8]
	s_waitcnt vmcnt(0)
	s_delay_alu instid0(VALU_DEP_2) | instskip(NEXT) | instid1(VALU_DEP_2)
	v_add_f64 v[7:8], v[17:18], -|v[11:12]|
	v_add_f64 v[17:18], v[5:6], |v[11:12]|
	v_dual_mov_b32 v5, v11 :: v_dual_and_b32 v6, 0x7fffffff, v12
	s_delay_alu instid0(VALU_DEP_3) | instskip(NEXT) | instid1(VALU_DEP_3)
	v_cmp_lt_f64_e32 vcc_lo, v[7:8], v[1:2]
	v_cmp_lt_f64_e64 s3, v[3:4], v[17:18]
	v_dual_cndmask_b32 v2, v2, v8 :: v_dual_cndmask_b32 v1, v1, v7
	s_delay_alu instid0(VALU_DEP_2)
	v_cndmask_b32_e64 v4, v4, v18, s3
	v_cndmask_b32_e64 v3, v3, v17, s3
	s_cbranch_scc1 .LBB17_9
.LBB17_10:                              ;   in Loop: Header=BB17_4 Depth=1
	s_add_i32 s50, s15, -1
	s_delay_alu instid0(SALU_CYCLE_1) | instskip(NEXT) | instid1(SALU_CYCLE_1)
	s_ashr_i32 s51, s50, 31
	s_lshl_b64 s[52:53], s[50:51], 3
	s_delay_alu instid0(SALU_CYCLE_1)
	s_add_u32 s52, s48, s52
	s_addc_u32 s53, s49, s53
	global_load_b64 v[7:8], v22, s[52:53]
	s_waitcnt vmcnt(0)
	v_add_f64 v[11:12], v[7:8], -v[5:6]
	v_add_f64 v[5:6], v[5:6], v[7:8]
	s_delay_alu instid0(VALU_DEP_2) | instskip(NEXT) | instid1(VALU_DEP_2)
	v_cmp_lt_f64_e32 vcc_lo, v[11:12], v[1:2]
	v_cmp_lt_f64_e64 s3, v[3:4], v[5:6]
	v_cndmask_b32_e32 v7, v2, v12, vcc_lo
	s_delay_alu instid0(VALU_DEP_2) | instskip(SKIP_3) | instid1(VALU_DEP_2)
	v_cndmask_b32_e64 v4, v4, v6, s3
	v_cndmask_b32_e32 v6, v1, v11, vcc_lo
	v_cndmask_b32_e64 v3, v3, v5, s3
	v_cvt_f64_i32_e32 v[11:12], s15
	v_cmp_lt_f64_e64 vcc_lo, |v[6:7]|, |v[3:4]|
	v_dual_cndmask_b32 v2, v7, v4 :: v_dual_cndmask_b32 v1, v6, v3
	s_and_not1_b32 vcc_lo, exec_lo, s12
	s_delay_alu instid0(VALU_DEP_1) | instskip(NEXT) | instid1(VALU_DEP_1)
	v_mul_f64 v[1:2], |v[1:2]|, s[8:9]
	v_fma_f64 v[5:6], -v[1:2], v[11:12], v[6:7]
	v_fma_f64 v[3:4], v[1:2], v[11:12], v[3:4]
	s_delay_alu instid0(VALU_DEP_2) | instskip(NEXT) | instid1(VALU_DEP_2)
	v_add_f64 v[5:6], v[5:6], -s[18:19]
	v_add_f64 v[7:8], s[18:19], v[3:4]
	s_cbranch_vccnz .LBB17_12
; %bb.11:                               ;   in Loop: Header=BB17_4 Depth=1
	global_load_b128 v[29:32], v22, s[16:17]
	s_waitcnt vmcnt(0)
	v_cmp_lt_f64_e32 vcc_lo, v[5:6], v[29:30]
	v_cmp_lt_f64_e64 s3, v[31:32], v[7:8]
	v_dual_cndmask_b32 v6, v6, v30 :: v_dual_cndmask_b32 v5, v5, v29
	s_delay_alu instid0(VALU_DEP_2)
	v_cndmask_b32_e64 v8, v8, v32, s3
	v_cndmask_b32_e64 v7, v7, v31, s3
.LBB17_12:                              ;   in Loop: Header=BB17_4 Depth=1
	s_delay_alu instid0(VALU_DEP_1)
	v_cmp_nlt_f64_e32 vcc_lo, v[5:6], v[7:8]
	s_cbranch_vccz .LBB17_17
; %bb.13:                               ;   in Loop: Header=BB17_4 Depth=1
	s_and_saveexec_b32 s3, s1
	s_cbranch_execz .LBB17_15
; %bb.14:                               ;   in Loop: Header=BB17_4 Depth=1
	s_add_u32 s52, s76, s42
	s_addc_u32 s53, s77, s43
	ds_store_b16 v22, v22 offset:6660
	global_store_b32 v22, v22, s[52:53]
.LBB17_15:                              ;   in Loop: Header=BB17_4 Depth=1
	s_or_b32 exec_lo, exec_lo, s3
	s_mov_b32 s3, 0
	s_branch .LBB17_18
.LBB17_16:                              ;   in Loop: Header=BB17_4 Depth=1
                                        ; implicit-def: $vgpr30
                                        ; implicit-def: $vgpr32
                                        ; implicit-def: $vgpr29
                                        ; implicit-def: $vgpr31
                                        ; implicit-def: $vgpr4
	s_cbranch_execz .LBB17_3
	s_branch .LBB17_89
.LBB17_17:                              ;   in Loop: Header=BB17_4 Depth=1
	s_mov_b32 s3, -1
.LBB17_18:                              ;   in Loop: Header=BB17_4 Depth=1
	v_dual_mov_b32 v4, v28 :: v_dual_mov_b32 v31, v27
	v_dual_mov_b32 v29, v26 :: v_dual_mov_b32 v30, v24
	s_and_not1_b32 vcc_lo, exec_lo, s3
	s_cbranch_vccnz .LBB17_32
; %bb.19:                               ;   in Loop: Header=BB17_4 Depth=1
	v_add_f64 v[3:4], v[7:8], -v[5:6]
	s_mov_b32 s41, s21
	s_delay_alu instid0(VALU_DEP_1) | instskip(NEXT) | instid1(VALU_DEP_1)
	v_add_f64 v[3:4], s[18:19], v[3:4]
	v_frexp_mant_f64_e32 v[11:12], v[3:4]
	v_frexp_exp_i32_f64_e32 v17, v[3:4]
	s_delay_alu instid0(VALU_DEP_2) | instskip(SKIP_2) | instid1(VALU_DEP_2)
	v_cmp_gt_f64_e32 vcc_lo, s[20:21], v[11:12]
	s_and_b32 s3, vcc_lo, exec_lo
	s_cselect_b32 s7, 2.0, 0x3ff00000
	v_subrev_co_ci_u32_e64 v39, s3, 0, v17, vcc_lo
	v_mul_f64 v[11:12], v[11:12], s[6:7]
	v_cmp_class_f64_e64 vcc_lo, v[3:4], 0x204
	s_delay_alu instid0(VALU_DEP_2) | instskip(SKIP_1) | instid1(VALU_DEP_2)
	v_add_f64 v[17:18], v[11:12], 1.0
	v_add_f64 v[33:34], v[11:12], -1.0
	v_rcp_f64_e32 v[29:30], v[17:18]
	v_add_f64 v[35:36], v[17:18], -1.0
	s_delay_alu instid0(VALU_DEP_1) | instskip(SKIP_2) | instid1(VALU_DEP_1)
	v_add_f64 v[11:12], v[11:12], -v[35:36]
	s_waitcnt_depctr 0xfff
	v_fma_f64 v[31:32], -v[17:18], v[29:30], 1.0
	v_fma_f64 v[29:30], v[31:32], v[29:30], v[29:30]
	s_delay_alu instid0(VALU_DEP_1) | instskip(NEXT) | instid1(VALU_DEP_1)
	v_fma_f64 v[31:32], -v[17:18], v[29:30], 1.0
	v_fma_f64 v[29:30], v[31:32], v[29:30], v[29:30]
	s_delay_alu instid0(VALU_DEP_1) | instskip(NEXT) | instid1(VALU_DEP_1)
	v_mul_f64 v[31:32], v[33:34], v[29:30]
	v_mul_f64 v[37:38], v[17:18], v[31:32]
	s_delay_alu instid0(VALU_DEP_1) | instskip(NEXT) | instid1(VALU_DEP_1)
	v_fma_f64 v[17:18], v[31:32], v[17:18], -v[37:38]
	v_fma_f64 v[11:12], v[31:32], v[11:12], v[17:18]
	s_delay_alu instid0(VALU_DEP_1) | instskip(NEXT) | instid1(VALU_DEP_1)
	v_add_f64 v[17:18], v[37:38], v[11:12]
	v_add_f64 v[35:36], v[33:34], -v[17:18]
	v_add_f64 v[37:38], v[17:18], -v[37:38]
	s_delay_alu instid0(VALU_DEP_2) | instskip(NEXT) | instid1(VALU_DEP_2)
	v_add_f64 v[33:34], v[33:34], -v[35:36]
	v_add_f64 v[11:12], v[37:38], -v[11:12]
	s_delay_alu instid0(VALU_DEP_2) | instskip(NEXT) | instid1(VALU_DEP_1)
	v_add_f64 v[17:18], v[33:34], -v[17:18]
	v_add_f64 v[11:12], v[11:12], v[17:18]
	s_delay_alu instid0(VALU_DEP_1) | instskip(NEXT) | instid1(VALU_DEP_1)
	v_add_f64 v[11:12], v[35:36], v[11:12]
	v_mul_f64 v[11:12], v[29:30], v[11:12]
	s_delay_alu instid0(VALU_DEP_1) | instskip(NEXT) | instid1(VALU_DEP_1)
	v_add_f64 v[17:18], v[31:32], v[11:12]
	v_mul_f64 v[29:30], v[17:18], v[17:18]
	s_delay_alu instid0(VALU_DEP_1) | instskip(SKIP_1) | instid1(VALU_DEP_2)
	v_fma_f64 v[33:34], v[29:30], s[24:25], s[22:23]
	v_mul_f64 v[35:36], v[17:18], v[29:30]
	v_fma_f64 v[33:34], v[29:30], v[33:34], s[26:27]
	s_delay_alu instid0(VALU_DEP_1) | instskip(NEXT) | instid1(VALU_DEP_1)
	v_fma_f64 v[33:34], v[29:30], v[33:34], s[28:29]
	v_fma_f64 v[33:34], v[29:30], v[33:34], s[30:31]
	s_delay_alu instid0(VALU_DEP_1) | instskip(NEXT) | instid1(VALU_DEP_1)
	v_fma_f64 v[33:34], v[29:30], v[33:34], s[34:35]
	v_fma_f64 v[29:30], v[29:30], v[33:34], s[40:41]
	v_ldexp_f64 v[33:34], v[17:18], 1
	v_add_f64 v[17:18], v[17:18], -v[31:32]
	s_delay_alu instid0(VALU_DEP_3) | instskip(SKIP_1) | instid1(VALU_DEP_3)
	v_mul_f64 v[29:30], v[35:36], v[29:30]
	v_cvt_f64_i32_e32 v[35:36], v39
	v_add_f64 v[11:12], v[11:12], -v[17:18]
	s_delay_alu instid0(VALU_DEP_3) | instskip(NEXT) | instid1(VALU_DEP_3)
	v_add_f64 v[31:32], v[33:34], v[29:30]
	v_mul_f64 v[37:38], v[35:36], s[44:45]
	s_delay_alu instid0(VALU_DEP_3) | instskip(NEXT) | instid1(VALU_DEP_3)
	v_ldexp_f64 v[11:12], v[11:12], 1
	v_add_f64 v[17:18], v[31:32], -v[33:34]
	s_delay_alu instid0(VALU_DEP_3) | instskip(NEXT) | instid1(VALU_DEP_2)
	v_fma_f64 v[33:34], v[35:36], s[44:45], -v[37:38]
	v_add_f64 v[17:18], v[29:30], -v[17:18]
	s_delay_alu instid0(VALU_DEP_2) | instskip(NEXT) | instid1(VALU_DEP_2)
	v_fma_f64 v[29:30], v[35:36], s[46:47], v[33:34]
	v_add_f64 v[11:12], v[11:12], v[17:18]
	s_delay_alu instid0(VALU_DEP_2) | instskip(NEXT) | instid1(VALU_DEP_2)
	v_add_f64 v[17:18], v[37:38], v[29:30]
	v_add_f64 v[33:34], v[31:32], v[11:12]
	s_delay_alu instid0(VALU_DEP_2) | instskip(NEXT) | instid1(VALU_DEP_2)
	v_add_f64 v[37:38], v[17:18], -v[37:38]
	v_add_f64 v[35:36], v[17:18], v[33:34]
	v_add_f64 v[31:32], v[33:34], -v[31:32]
	s_delay_alu instid0(VALU_DEP_3) | instskip(NEXT) | instid1(VALU_DEP_3)
	v_add_f64 v[29:30], v[29:30], -v[37:38]
	v_add_f64 v[39:40], v[35:36], -v[17:18]
	s_delay_alu instid0(VALU_DEP_3) | instskip(NEXT) | instid1(VALU_DEP_2)
	v_add_f64 v[11:12], v[11:12], -v[31:32]
	v_add_f64 v[41:42], v[35:36], -v[39:40]
	;; [unrolled: 1-line block ×3, first 2 shown]
	s_delay_alu instid0(VALU_DEP_3) | instskip(NEXT) | instid1(VALU_DEP_3)
	v_add_f64 v[33:34], v[29:30], v[11:12]
	v_add_f64 v[17:18], v[17:18], -v[41:42]
	s_delay_alu instid0(VALU_DEP_1) | instskip(NEXT) | instid1(VALU_DEP_3)
	v_add_f64 v[17:18], v[31:32], v[17:18]
	v_add_f64 v[31:32], v[33:34], -v[29:30]
	s_delay_alu instid0(VALU_DEP_2) | instskip(NEXT) | instid1(VALU_DEP_2)
	v_add_f64 v[17:18], v[33:34], v[17:18]
	v_add_f64 v[33:34], v[33:34], -v[31:32]
	v_add_f64 v[11:12], v[11:12], -v[31:32]
	s_delay_alu instid0(VALU_DEP_3) | instskip(NEXT) | instid1(VALU_DEP_3)
	v_add_f64 v[37:38], v[35:36], v[17:18]
	v_add_f64 v[29:30], v[29:30], -v[33:34]
	s_delay_alu instid0(VALU_DEP_2) | instskip(NEXT) | instid1(VALU_DEP_2)
	v_add_f64 v[31:32], v[37:38], -v[35:36]
	v_add_f64 v[11:12], v[11:12], v[29:30]
	s_delay_alu instid0(VALU_DEP_2) | instskip(NEXT) | instid1(VALU_DEP_1)
	v_add_f64 v[17:18], v[17:18], -v[31:32]
	v_add_f64 v[11:12], v[11:12], v[17:18]
	s_delay_alu instid0(VALU_DEP_1) | instskip(NEXT) | instid1(VALU_DEP_1)
	v_add_f64 v[11:12], v[37:38], v[11:12]
	v_dual_cndmask_b32 v11, v11, v3 :: v_dual_cndmask_b32 v12, v12, v4
	v_cmp_ngt_f64_e32 vcc_lo, 0, v[3:4]
	s_delay_alu instid0(VALU_DEP_2) | instskip(SKIP_1) | instid1(VALU_DEP_4)
	v_cndmask_b32_e32 v12, 0x7ff80000, v12, vcc_lo
	v_cmp_nge_f64_e32 vcc_lo, 0, v[3:4]
	v_cndmask_b32_e32 v11, 0, v11, vcc_lo
	v_cmp_neq_f64_e32 vcc_lo, 0, v[3:4]
	s_delay_alu instid0(VALU_DEP_4) | instskip(NEXT) | instid1(VALU_DEP_1)
	v_cndmask_b32_e32 v12, 0xfff00000, v12, vcc_lo
	v_add_f64 v[3:4], v[11:12], -v[15:16]
	s_delay_alu instid0(VALU_DEP_1) | instskip(SKIP_1) | instid1(VALU_DEP_2)
	v_div_scale_f64 v[11:12], null, s[44:45], s[44:45], v[3:4]
	v_div_scale_f64 v[31:32], vcc_lo, v[3:4], s[44:45], v[3:4]
	v_rcp_f64_e32 v[17:18], v[11:12]
	s_waitcnt_depctr 0xfff
	v_fma_f64 v[29:30], -v[11:12], v[17:18], 1.0
	s_delay_alu instid0(VALU_DEP_1) | instskip(NEXT) | instid1(VALU_DEP_1)
	v_fma_f64 v[17:18], v[17:18], v[29:30], v[17:18]
	v_fma_f64 v[29:30], -v[11:12], v[17:18], 1.0
	s_delay_alu instid0(VALU_DEP_1) | instskip(NEXT) | instid1(VALU_DEP_1)
	v_fma_f64 v[17:18], v[17:18], v[29:30], v[17:18]
	v_mul_f64 v[29:30], v[31:32], v[17:18]
	s_delay_alu instid0(VALU_DEP_1) | instskip(SKIP_1) | instid1(VALU_DEP_2)
	v_fma_f64 v[11:12], -v[11:12], v[29:30], v[31:32]
	v_mov_b32_e32 v31, 1
	v_div_fmas_f64 v[11:12], v[11:12], v[17:18], v[29:30]
	v_mov_b32_e32 v30, 0
	s_delay_alu instid0(VALU_DEP_2) | instskip(NEXT) | instid1(VALU_DEP_1)
	v_div_fixup_f64 v[3:4], v[11:12], s[44:45], v[3:4]
	v_cvt_i32_f64_e32 v3, v[3:4]
	s_delay_alu instid0(VALU_DEP_1)
	v_dual_mov_b32 v4, v28 :: v_dual_add_nc_u32 v29, 2, v3
	s_and_saveexec_b32 s7, s1
	s_cbranch_execz .LBB17_31
; %bb.20:                               ;   in Loop: Header=BB17_4 Depth=1
	v_add_f64 v[11:12], v[9:10], -v[5:6]
	s_add_u32 s52, s70, s4
	s_addc_u32 s53, s71, s5
	s_cmp_gt_i32 s15, 1
	ds_store_b8 v22, v22 offset:6661
	s_cselect_b32 s39, -1, 0
	s_cmp_lt_i32 s15, 2
	v_cmp_ge_f64_e32 vcc_lo, s[18:19], v[11:12]
	v_cndmask_b32_e64 v3, 0, 1, vcc_lo
	s_cbranch_scc1 .LBB17_23
; %bb.21:                               ;   in Loop: Header=BB17_4 Depth=1
	v_cmp_gt_f64_e64 s3, v[11:12], -s[18:19]
	s_xor_b32 s41, s19, 0x80000000
	s_mov_b64 s[56:57], s[52:53]
	s_mov_b32 s51, s50
	s_delay_alu instid0(VALU_DEP_1)
	s_and_b32 s3, vcc_lo, s3
	s_add_u32 s54, s80, s4
	v_cndmask_b32_e64 v12, v12, s41, s3
	v_cndmask_b32_e64 v11, v11, s18, s3
	s_addc_u32 s55, s81, s5
	s_set_inst_prefetch_distance 0x1
	.p2align	6
.LBB17_22:                              ;   Parent Loop BB17_4 Depth=1
                                        ; =>  This Inner Loop Header: Depth=2
	s_clause 0x1
	global_load_b64 v[17:18], v22, s[56:57]
	global_load_b64 v[30:31], v22, s[54:55]
	s_add_i32 s51, s51, -1
	s_waitcnt vmcnt(1)
	v_div_scale_f64 v[32:33], null, v[11:12], v[11:12], v[17:18]
	v_div_scale_f64 v[38:39], vcc_lo, v[17:18], v[11:12], v[17:18]
	s_waitcnt vmcnt(0)
	v_add_f64 v[30:31], v[30:31], -v[5:6]
	s_delay_alu instid0(VALU_DEP_3) | instskip(SKIP_2) | instid1(VALU_DEP_1)
	v_rcp_f64_e32 v[34:35], v[32:33]
	s_waitcnt_depctr 0xfff
	v_fma_f64 v[36:37], -v[32:33], v[34:35], 1.0
	v_fma_f64 v[34:35], v[34:35], v[36:37], v[34:35]
	s_delay_alu instid0(VALU_DEP_1) | instskip(NEXT) | instid1(VALU_DEP_1)
	v_fma_f64 v[36:37], -v[32:33], v[34:35], 1.0
	v_fma_f64 v[34:35], v[34:35], v[36:37], v[34:35]
	s_delay_alu instid0(VALU_DEP_1) | instskip(NEXT) | instid1(VALU_DEP_1)
	v_mul_f64 v[36:37], v[38:39], v[34:35]
	v_fma_f64 v[32:33], -v[32:33], v[36:37], v[38:39]
	s_delay_alu instid0(VALU_DEP_1) | instskip(NEXT) | instid1(VALU_DEP_1)
	v_div_fmas_f64 v[32:33], v[32:33], v[34:35], v[36:37]
	v_div_fixup_f64 v[11:12], v[32:33], v[11:12], v[17:18]
	s_delay_alu instid0(VALU_DEP_1) | instskip(NEXT) | instid1(VALU_DEP_1)
	v_add_f64 v[11:12], v[30:31], -v[11:12]
	v_cmp_ge_f64_e32 vcc_lo, s[18:19], v[11:12]
	v_cmp_gt_f64_e64 s58, v[11:12], -s[18:19]
	v_add_co_ci_u32_e64 v3, s3, 0, v3, vcc_lo
	s_delay_alu instid0(VALU_DEP_2)
	s_and_b32 s3, vcc_lo, s58
	s_add_u32 s56, s56, 8
	v_cndmask_b32_e64 v12, v12, s41, s3
	v_cndmask_b32_e64 v11, v11, s18, s3
	s_addc_u32 s57, s57, 0
	s_add_u32 s54, s54, 8
	s_addc_u32 s55, s55, 0
	s_cmp_lg_u32 s51, 0
	s_cbranch_scc1 .LBB17_22
.LBB17_23:                              ;   in Loop: Header=BB17_4 Depth=1
	s_set_inst_prefetch_distance 0x2
	v_add_f64 v[9:10], v[9:10], -v[7:8]
	s_and_not1_b32 vcc_lo, exec_lo, s39
	s_delay_alu instid0(VALU_DEP_1) | instskip(NEXT) | instid1(VALU_DEP_1)
	v_cmp_ge_f64_e64 s3, s[18:19], v[9:10]
	v_cndmask_b32_e64 v4, 0, 1, s3
	s_cbranch_vccnz .LBB17_26
; %bb.24:                               ;   in Loop: Header=BB17_4 Depth=1
	v_cmp_gt_f64_e64 s41, v[9:10], -s[18:19]
	s_xor_b32 s39, s19, 0x80000000
	s_delay_alu instid0(VALU_DEP_1)
	s_and_b32 s3, s3, s41
	s_add_u32 s54, s80, s4
	v_cndmask_b32_e64 v10, v10, s39, s3
	v_cndmask_b32_e64 v9, v9, s18, s3
	s_addc_u32 s55, s81, s5
	s_mov_b32 s41, s50
	s_set_inst_prefetch_distance 0x1
	.p2align	6
.LBB17_25:                              ;   Parent Loop BB17_4 Depth=1
                                        ; =>  This Inner Loop Header: Depth=2
	s_clause 0x1
	global_load_b64 v[11:12], v22, s[52:53]
	global_load_b64 v[17:18], v22, s[54:55]
	s_add_i32 s41, s41, -1
	s_waitcnt vmcnt(1)
	v_div_scale_f64 v[30:31], null, v[9:10], v[9:10], v[11:12]
	v_div_scale_f64 v[36:37], vcc_lo, v[11:12], v[9:10], v[11:12]
	s_waitcnt vmcnt(0)
	v_add_f64 v[17:18], v[17:18], -v[7:8]
	s_delay_alu instid0(VALU_DEP_3) | instskip(SKIP_2) | instid1(VALU_DEP_1)
	v_rcp_f64_e32 v[32:33], v[30:31]
	s_waitcnt_depctr 0xfff
	v_fma_f64 v[34:35], -v[30:31], v[32:33], 1.0
	v_fma_f64 v[32:33], v[32:33], v[34:35], v[32:33]
	s_delay_alu instid0(VALU_DEP_1) | instskip(NEXT) | instid1(VALU_DEP_1)
	v_fma_f64 v[34:35], -v[30:31], v[32:33], 1.0
	v_fma_f64 v[32:33], v[32:33], v[34:35], v[32:33]
	s_delay_alu instid0(VALU_DEP_1) | instskip(NEXT) | instid1(VALU_DEP_1)
	v_mul_f64 v[34:35], v[36:37], v[32:33]
	v_fma_f64 v[30:31], -v[30:31], v[34:35], v[36:37]
	s_delay_alu instid0(VALU_DEP_1) | instskip(NEXT) | instid1(VALU_DEP_1)
	v_div_fmas_f64 v[30:31], v[30:31], v[32:33], v[34:35]
	v_div_fixup_f64 v[9:10], v[30:31], v[9:10], v[11:12]
	s_delay_alu instid0(VALU_DEP_1) | instskip(NEXT) | instid1(VALU_DEP_1)
	v_add_f64 v[9:10], v[17:18], -v[9:10]
	v_cmp_ge_f64_e32 vcc_lo, s[18:19], v[9:10]
	v_cmp_gt_f64_e64 s51, v[9:10], -s[18:19]
	v_add_co_ci_u32_e64 v4, s3, 0, v4, vcc_lo
	s_delay_alu instid0(VALU_DEP_2)
	s_and_b32 s3, vcc_lo, s51
	s_add_u32 s52, s52, 8
	v_cndmask_b32_e64 v10, v10, s39, s3
	v_cndmask_b32_e64 v9, v9, s18, s3
	s_addc_u32 s53, s53, 0
	s_add_u32 s54, s54, 8
	s_addc_u32 s55, s55, 0
	s_cmp_lg_u32 s41, 0
	s_cbranch_scc1 .LBB17_25
.LBB17_26:                              ;   in Loop: Header=BB17_4 Depth=1
	s_set_inst_prefetch_distance 0x2
	s_delay_alu instid0(VALU_DEP_1) | instskip(NEXT) | instid1(VALU_DEP_1)
	v_sub_nc_u32_e32 v9, v4, v3
	v_cmp_gt_i32_e32 vcc_lo, 1, v9
	s_cbranch_vccz .LBB17_28
; %bb.27:                               ;   in Loop: Header=BB17_4 Depth=1
	s_add_u32 s52, s76, s42
	s_addc_u32 s53, s77, s43
	s_mov_b32 s3, 1
	s_mov_b32 s39, 0
	ds_store_b8 v22, v22 offset:6660
	global_store_b32 v22, v22, s[52:53]
	s_cbranch_execz .LBB17_29
	s_branch .LBB17_30
.LBB17_28:                              ;   in Loop: Header=BB17_4 Depth=1
                                        ; implicit-def: $sgpr39
                                        ; implicit-def: $sgpr3
.LBB17_29:                              ;   in Loop: Header=BB17_4 Depth=1
	s_add_i32 s3, s38, s13
	s_mov_b32 s39, 0
	s_lshl_b32 s52, s3, 1
	s_mov_b32 s3, 1
	s_ashr_i32 s53, s52, 31
	ds_store_b8 v22, v23 offset:6660
	s_lshl_b64 s[54:55], s[52:53], 3
	s_delay_alu instid0(SALU_CYCLE_1)
	s_add_u32 s54, s72, s54
	s_addc_u32 s55, s73, s55
	s_add_u32 s56, s76, s42
	s_addc_u32 s57, s77, s43
	s_lshl_b64 s[52:53], s[52:53], 2
	s_clause 0x1
	global_store_b128 v22, v[5:8], s[54:55]
	global_store_b32 v22, v9, s[56:57]
	s_add_u32 s52, s74, s52
	s_addc_u32 s53, s75, s53
	global_store_b64 v22, v[3:4], s[52:53]
.LBB17_30:                              ;   in Loop: Header=BB17_4 Depth=1
	v_dual_mov_b32 v30, s39 :: v_dual_mov_b32 v31, s3
.LBB17_31:                              ;   in Loop: Header=BB17_4 Depth=1
	s_or_b32 exec_lo, exec_lo, s7
.LBB17_32:                              ;   in Loop: Header=BB17_4 Depth=1
	s_waitcnt lgkmcnt(0)
	s_waitcnt_vscnt null, 0x0
	s_barrier
	buffer_gl0_inv
	ds_load_u8 v3, v22 offset:6660
	s_mov_b32 s3, 0
	s_waitcnt lgkmcnt(0)
	v_cmp_eq_u32_e32 vcc_lo, 0, v3
	s_cbranch_vccnz .LBB17_71
; %bb.33:                               ;   in Loop: Header=BB17_4 Depth=1
	ds_load_u8 v3, v22 offset:6661
	v_cmp_lt_i32_e32 vcc_lo, v30, v29
	v_mov_b32_e32 v32, v25
	s_waitcnt lgkmcnt(0)
	v_readfirstlane_b32 s3, v3
	s_delay_alu instid0(VALU_DEP_1) | instskip(SKIP_1) | instid1(SALU_CYCLE_1)
	s_bitcmp1_b32 s3, 0
	s_cselect_b32 s3, -1, 0
	s_xor_b32 s7, s3, -1
	s_mov_b32 s3, -1
	s_and_b32 s39, s7, vcc_lo
	s_delay_alu instid0(SALU_CYCLE_1)
	s_and_saveexec_b32 s7, s39
	s_cbranch_execz .LBB17_73
; %bb.34:                               ;   in Loop: Header=BB17_4 Depth=1
	v_cndmask_b32_e64 v2, s37, v2, s0
	v_cndmask_b32_e64 v1, s36, v1, s0
	s_add_i32 s3, s38, s13
                                        ; implicit-def: $sgpr51
	s_delay_alu instid0(SALU_CYCLE_1) | instskip(SKIP_1) | instid1(VALU_DEP_1)
	s_lshl_b32 s39, s3, 1
	s_cmp_gt_i32 s15, 1
	v_cmp_gt_f64_e32 vcc_lo, s[18:19], v[1:2]
	s_cselect_b32 s15, -1, 0
	s_lshl_b32 s41, s38, 1
	s_add_u32 s52, s70, s4
	s_addc_u32 s53, s71, s5
	s_add_u32 s54, s80, s4
	s_addc_u32 s55, s81, s5
	s_mov_b32 s5, 0
	v_cndmask_b32_e64 v18, v2, s19, vcc_lo
	v_cndmask_b32_e64 v17, v1, s18, vcc_lo
	s_branch .LBB17_37
.LBB17_35:                              ;   in Loop: Header=BB17_37 Depth=2
	ds_load_u8 v1, v22 offset:6661
	v_cmp_ge_i32_e64 s3, v30, v29
	s_waitcnt lgkmcnt(0)
	v_and_b32_e32 v1, 1, v1
	s_delay_alu instid0(VALU_DEP_1) | instskip(NEXT) | instid1(VALU_DEP_3)
	v_cmp_eq_u32_e32 vcc_lo, 1, v1
	s_or_b32 s4, vcc_lo, s3
	s_mov_b32 s3, -1
	s_or_not1_b32 s4, s4, exec_lo
.LBB17_36:                              ;   in Loop: Header=BB17_37 Depth=2
	s_delay_alu instid0(SALU_CYCLE_1) | instskip(NEXT) | instid1(SALU_CYCLE_1)
	s_and_b32 s4, exec_lo, s4
	s_or_b32 s5, s4, s5
	s_and_not1_b32 s4, s51, exec_lo
	s_and_b32 s3, s3, exec_lo
	s_delay_alu instid0(SALU_CYCLE_1)
	s_or_b32 s51, s4, s3
	s_and_not1_b32 exec_lo, exec_lo, s5
	s_cbranch_execz .LBB17_72
.LBB17_37:                              ;   Parent Loop BB17_4 Depth=1
                                        ; =>  This Loop Header: Depth=2
                                        ;       Child Loop BB17_42 Depth 3
                                        ;         Child Loop BB17_45 Depth 4
                                        ;         Child Loop BB17_58 Depth 4
	s_and_saveexec_b32 s3, s1
	s_cbranch_execz .LBB17_39
; %bb.38:                               ;   in Loop: Header=BB17_37 Depth=2
	ds_store_b32 v22, v22 offset:6656
.LBB17_39:                              ;   in Loop: Header=BB17_37 Depth=2
	s_or_b32 exec_lo, exec_lo, s3
	v_dual_mov_b32 v2, s41 :: v_dual_and_b32 v1, 1, v30
	s_mov_b32 s84, exec_lo
	s_delay_alu instid0(VALU_DEP_1) | instskip(NEXT) | instid1(VALU_DEP_2)
	v_cmp_eq_u32_e32 vcc_lo, 0, v1
	v_cndmask_b32_e32 v32, s39, v2, vcc_lo
	v_cmpx_lt_i32_e32 0, v31
	s_cbranch_execz .LBB17_66
; %bb.40:                               ;   in Loop: Header=BB17_37 Depth=2
	v_mov_b32_e32 v1, s39
	s_mov_b32 s85, 0
	s_mov_b32 s86, 0
	s_delay_alu instid0(VALU_DEP_1)
	v_cndmask_b32_e32 v33, s41, v1, vcc_lo
	s_branch .LBB17_42
.LBB17_41:                              ;   in Loop: Header=BB17_42 Depth=3
	s_or_b32 exec_lo, exec_lo, s3
	s_addk_i32 s86, 0x80
	s_waitcnt lgkmcnt(0)
	v_cmp_ge_i32_e32 vcc_lo, s86, v31
	s_barrier
	buffer_gl0_inv
	s_or_b32 s85, vcc_lo, s85
	s_delay_alu instid0(SALU_CYCLE_1)
	s_and_not1_b32 exec_lo, exec_lo, s85
	s_cbranch_execz .LBB17_65
.LBB17_42:                              ;   Parent Loop BB17_4 Depth=1
                                        ;     Parent Loop BB17_37 Depth=2
                                        ; =>    This Loop Header: Depth=3
                                        ;         Child Loop BB17_45 Depth 4
                                        ;         Child Loop BB17_58 Depth 4
	v_add_nc_u32_e32 v1, s86, v0
	s_delay_alu instid0(VALU_DEP_1) | instskip(NEXT) | instid1(VALU_DEP_1)
	v_cmp_lt_i32_e64 s3, v1, v31
	s_and_saveexec_b32 s87, s3
	s_cbranch_execz .LBB17_55
; %bb.43:                               ;   in Loop: Header=BB17_42 Depth=3
	v_lshl_add_u32 v1, v1, 1, v33
	s_delay_alu instid0(VALU_DEP_1) | instskip(NEXT) | instid1(VALU_DEP_1)
	v_ashrrev_i32_e32 v2, 31, v1
	v_lshlrev_b64 v[3:4], 3, v[1:2]
	v_lshlrev_b64 v[1:2], 2, v[1:2]
	s_delay_alu instid0(VALU_DEP_2) | instskip(NEXT) | instid1(VALU_DEP_3)
	v_add_co_u32 v3, vcc_lo, s72, v3
	v_add_co_ci_u32_e32 v4, vcc_lo, s73, v4, vcc_lo
	s_delay_alu instid0(VALU_DEP_3) | instskip(NEXT) | instid1(VALU_DEP_4)
	v_add_co_u32 v1, vcc_lo, s74, v1
	v_add_co_ci_u32_e32 v2, vcc_lo, s75, v2, vcc_lo
	global_load_b128 v[5:8], v[3:4], off
	global_load_b64 v[9:10], v22, s[48:49]
	s_and_not1_b32 vcc_lo, exec_lo, s15
	global_load_b64 v[3:4], v[1:2], off
	s_waitcnt vmcnt(2)
	v_add_f64 v[11:12], v[5:6], v[7:8]
	s_waitcnt vmcnt(1)
	s_delay_alu instid0(VALU_DEP_1) | instskip(SKIP_1) | instid1(VALU_DEP_2)
	v_fma_f64 v[1:2], v[11:12], -0.5, v[9:10]
	v_mul_f64 v[9:10], v[11:12], 0.5
	v_cmp_ge_f64_e64 s4, s[18:19], v[1:2]
	s_delay_alu instid0(VALU_DEP_1)
	v_cndmask_b32_e64 v11, 0, 1, s4
	s_cbranch_vccnz .LBB17_46
; %bb.44:                               ;   in Loop: Header=BB17_42 Depth=3
	v_cmp_gt_f64_e64 s56, v[1:2], -s[18:19]
	s_xor_b32 s88, s19, 0x80000000
	s_mov_b64 s[58:59], s[52:53]
	s_mov_b32 s89, s50
	s_delay_alu instid0(VALU_DEP_1)
	s_and_b32 s4, s4, s56
	s_mov_b64 s[56:57], s[54:55]
	v_cndmask_b32_e64 v2, v2, s88, s4
	v_cndmask_b32_e64 v1, v1, s18, s4
	s_set_inst_prefetch_distance 0x1
	.p2align	6
.LBB17_45:                              ;   Parent Loop BB17_4 Depth=1
                                        ;     Parent Loop BB17_37 Depth=2
                                        ;       Parent Loop BB17_42 Depth=3
                                        ; =>      This Inner Loop Header: Depth=4
	s_clause 0x1
	global_load_b64 v[34:35], v22, s[58:59]
	global_load_b64 v[36:37], v22, s[56:57]
	s_add_i32 s89, s89, -1
	s_waitcnt vmcnt(1)
	v_div_scale_f64 v[38:39], null, v[1:2], v[1:2], v[34:35]
	v_div_scale_f64 v[44:45], vcc_lo, v[34:35], v[1:2], v[34:35]
	s_waitcnt vmcnt(0)
	v_add_f64 v[36:37], v[36:37], -v[9:10]
	s_delay_alu instid0(VALU_DEP_3) | instskip(SKIP_2) | instid1(VALU_DEP_1)
	v_rcp_f64_e32 v[40:41], v[38:39]
	s_waitcnt_depctr 0xfff
	v_fma_f64 v[42:43], -v[38:39], v[40:41], 1.0
	v_fma_f64 v[40:41], v[40:41], v[42:43], v[40:41]
	s_delay_alu instid0(VALU_DEP_1) | instskip(NEXT) | instid1(VALU_DEP_1)
	v_fma_f64 v[42:43], -v[38:39], v[40:41], 1.0
	v_fma_f64 v[40:41], v[40:41], v[42:43], v[40:41]
	s_delay_alu instid0(VALU_DEP_1) | instskip(NEXT) | instid1(VALU_DEP_1)
	v_mul_f64 v[42:43], v[44:45], v[40:41]
	v_fma_f64 v[38:39], -v[38:39], v[42:43], v[44:45]
	s_delay_alu instid0(VALU_DEP_1) | instskip(NEXT) | instid1(VALU_DEP_1)
	v_div_fmas_f64 v[38:39], v[38:39], v[40:41], v[42:43]
	v_div_fixup_f64 v[1:2], v[38:39], v[1:2], v[34:35]
	s_delay_alu instid0(VALU_DEP_1) | instskip(NEXT) | instid1(VALU_DEP_1)
	v_add_f64 v[1:2], v[36:37], -v[1:2]
	v_cmp_ge_f64_e32 vcc_lo, s[18:19], v[1:2]
	v_cmp_gt_f64_e64 s90, v[1:2], -s[18:19]
	v_add_co_ci_u32_e64 v11, s4, 0, v11, vcc_lo
	s_delay_alu instid0(VALU_DEP_2)
	s_and_b32 s4, vcc_lo, s90
	s_add_u32 s58, s58, 8
	v_cndmask_b32_e64 v2, v2, s88, s4
	v_cndmask_b32_e64 v1, v1, s18, s4
	s_addc_u32 s59, s59, 0
	s_add_u32 s56, s56, 8
	s_addc_u32 s57, s57, 0
	s_cmp_lg_u32 s89, 0
	s_cbranch_scc1 .LBB17_45
.LBB17_46:                              ;   in Loop: Header=BB17_42 Depth=3
	s_set_inst_prefetch_distance 0x2
	s_waitcnt vmcnt(0)
	s_delay_alu instid0(VALU_DEP_1) | instskip(SKIP_1) | instid1(VALU_DEP_1)
	v_max_i32_e32 v1, v11, v3
	s_mov_b32 s4, exec_lo
	v_min_i32_e32 v2, v1, v4
	s_delay_alu instid0(VALU_DEP_1)
	v_cmpx_ne_u32_e64 v2, v3
	s_xor_b32 s4, exec_lo, s4
	s_cbranch_execz .LBB17_52
; %bb.47:                               ;   in Loop: Header=BB17_42 Depth=3
	s_mov_b32 s56, exec_lo
	v_cmpx_le_i32_e64 v4, v1
	s_xor_b32 s56, exec_lo, s56
	s_cbranch_execz .LBB17_49
; %bb.48:                               ;   in Loop: Header=BB17_42 Depth=3
	v_dual_mov_b32 v7, v9 :: v_dual_mov_b32 v8, v10
	v_mov_b32_e32 v1, v3
                                        ; implicit-def: $vgpr9_vgpr10
	ds_store_b32 v19, v22
	ds_store_b128 v20, v[5:8]
	ds_store_b64 v21, v[1:2]
                                        ; implicit-def: $vgpr5_vgpr6
.LBB17_49:                              ;   in Loop: Header=BB17_42 Depth=3
	s_and_not1_saveexec_b32 s56, s56
	s_cbranch_execz .LBB17_51
; %bb.50:                               ;   in Loop: Header=BB17_42 Depth=3
	v_dual_mov_b32 v34, v5 :: v_dual_mov_b32 v35, v6
	v_dual_mov_b32 v36, v9 :: v_dual_mov_b32 v37, v10
	;; [unrolled: 1-line block ×3, first 2 shown]
	v_mov_b32_e32 v1, v3
	v_mov_b32_e32 v3, v2
	ds_store_b32 v19, v23
	ds_store_b128 v20, v[34:37]
	ds_store_b128 v20, v[9:12] offset:16
	ds_store_b128 v21, v[1:4]
.LBB17_51:                              ;   in Loop: Header=BB17_42 Depth=3
	s_or_b32 exec_lo, exec_lo, s56
                                        ; implicit-def: $vgpr9_vgpr10
                                        ; implicit-def: $vgpr7_vgpr8
.LBB17_52:                              ;   in Loop: Header=BB17_42 Depth=3
	s_and_not1_saveexec_b32 s4, s4
	s_cbranch_execz .LBB17_54
; %bb.53:                               ;   in Loop: Header=BB17_42 Depth=3
	v_dual_mov_b32 v11, v7 :: v_dual_mov_b32 v12, v8
	ds_store_b32 v19, v22
	ds_store_b128 v20, v[9:12]
	ds_store_b64 v21, v[3:4]
.LBB17_54:                              ;   in Loop: Header=BB17_42 Depth=3
	s_or_b32 exec_lo, exec_lo, s4
.LBB17_55:                              ;   in Loop: Header=BB17_42 Depth=3
	s_delay_alu instid0(SALU_CYCLE_1)
	s_or_b32 exec_lo, exec_lo, s87
	s_waitcnt lgkmcnt(0)
	s_barrier
	buffer_gl0_inv
	s_and_saveexec_b32 s4, s3
	s_cbranch_execz .LBB17_63
; %bb.56:                               ;   in Loop: Header=BB17_42 Depth=3
	v_mov_b32_e32 v4, 0
	s_and_saveexec_b32 s3, s2
	s_cbranch_execz .LBB17_60
; %bb.57:                               ;   in Loop: Header=BB17_42 Depth=3
	v_dual_mov_b32 v4, 0 :: v_dual_mov_b32 v1, v0
	s_movk_i32 s57, 0x1800
	s_mov_b32 s56, 0
.LBB17_58:                              ;   Parent Loop BB17_4 Depth=1
                                        ;     Parent Loop BB17_37 Depth=2
                                        ;       Parent Loop BB17_42 Depth=3
                                        ; =>      This Inner Loop Header: Depth=4
	s_delay_alu instid0(VALU_DEP_1)
	v_dual_mov_b32 v2, s57 :: v_dual_add_nc_u32 v1, -1, v1
	s_add_i32 s57, s57, 4
	ds_load_b32 v2, v2
	v_cmp_eq_u32_e32 vcc_lo, 0, v1
	s_or_b32 s56, vcc_lo, s56
	s_waitcnt lgkmcnt(0)
	v_add_nc_u32_e32 v4, v2, v4
	s_and_not1_b32 exec_lo, exec_lo, s56
	s_cbranch_execnz .LBB17_58
; %bb.59:                               ;   in Loop: Header=BB17_42 Depth=3
	s_or_b32 exec_lo, exec_lo, s56
.LBB17_60:                              ;   in Loop: Header=BB17_42 Depth=3
	s_delay_alu instid0(SALU_CYCLE_1)
	s_or_b32 exec_lo, exec_lo, s3
	ds_load_b32 v1, v22 offset:6656
	ds_load_b64 v[11:12], v21
	ds_load_b32 v3, v19
	ds_load_b128 v[7:10], v20
	s_mov_b32 s3, exec_lo
	s_waitcnt lgkmcnt(3)
	v_add3_u32 v1, v4, v0, v1
	s_delay_alu instid0(VALU_DEP_1) | instskip(NEXT) | instid1(VALU_DEP_1)
	v_lshl_add_u32 v1, v1, 1, v32
	v_ashrrev_i32_e32 v2, 31, v1
	s_delay_alu instid0(VALU_DEP_1) | instskip(SKIP_1) | instid1(VALU_DEP_2)
	v_lshlrev_b64 v[5:6], 3, v[1:2]
	v_lshlrev_b64 v[34:35], 2, v[1:2]
	v_add_co_u32 v1, vcc_lo, s72, v5
	s_delay_alu instid0(VALU_DEP_3) | instskip(NEXT) | instid1(VALU_DEP_3)
	v_add_co_ci_u32_e32 v2, vcc_lo, s73, v6, vcc_lo
	v_add_co_u32 v5, vcc_lo, s74, v34
	s_delay_alu instid0(VALU_DEP_4)
	v_add_co_ci_u32_e32 v6, vcc_lo, s75, v35, vcc_lo
	s_waitcnt lgkmcnt(0)
	global_store_b128 v[1:2], v[7:10], off
	global_store_b64 v[5:6], v[11:12], off
	v_cmpx_ne_u32_e32 0, v3
	s_cbranch_execz .LBB17_62
; %bb.61:                               ;   in Loop: Header=BB17_42 Depth=3
	ds_load_b128 v[7:10], v20 offset:16
	ds_load_b64 v[11:12], v21 offset:8
	s_waitcnt lgkmcnt(1)
	global_store_b128 v[1:2], v[7:10], off offset:16
	s_waitcnt lgkmcnt(0)
	global_store_b64 v[5:6], v[11:12], off offset:8
.LBB17_62:                              ;   in Loop: Header=BB17_42 Depth=3
	s_or_b32 exec_lo, exec_lo, s3
.LBB17_63:                              ;   in Loop: Header=BB17_42 Depth=3
	s_delay_alu instid0(SALU_CYCLE_1)
	s_or_b32 exec_lo, exec_lo, s4
	v_subrev_nc_u32_e32 v1, s86, v31
	s_mov_b32 s3, exec_lo
	s_waitcnt_vscnt null, 0x0
	s_barrier
	buffer_gl0_inv
	v_min_i32_e32 v1, 0x80, v1
	s_delay_alu instid0(VALU_DEP_1) | instskip(NEXT) | instid1(VALU_DEP_1)
	v_add_nc_u32_e32 v2, -1, v1
	v_cmpx_eq_u32_e64 v2, v0
	s_cbranch_execz .LBB17_41
; %bb.64:                               ;   in Loop: Header=BB17_42 Depth=3
	ds_load_b32 v2, v19
	ds_load_b32 v3, v22 offset:6656
	v_add_nc_u32_e32 v1, v4, v1
	s_waitcnt lgkmcnt(0)
	s_delay_alu instid0(VALU_DEP_1)
	v_add3_u32 v1, v1, v2, v3
	ds_store_b32 v22, v1 offset:6656
	s_branch .LBB17_41
.LBB17_65:                              ;   in Loop: Header=BB17_37 Depth=2
	s_or_b32 exec_lo, exec_lo, s85
.LBB17_66:                              ;   in Loop: Header=BB17_37 Depth=2
	s_delay_alu instid0(SALU_CYCLE_1)
	s_or_b32 exec_lo, exec_lo, s84
	ds_load_b32 v31, v22 offset:6656
	s_and_saveexec_b32 s3, s1
	s_cbranch_execz .LBB17_69
; %bb.67:                               ;   in Loop: Header=BB17_37 Depth=2
	ds_load_b128 v[5:8], v22
	s_waitcnt lgkmcnt(0)
	v_cmp_lt_f64_e64 vcc_lo, |v[5:6]|, |v[7:8]|
	v_dual_cndmask_b32 v2, v6, v8 :: v_dual_cndmask_b32 v1, v5, v7
	v_add_f64 v[5:6], v[7:8], -v[5:6]
	s_delay_alu instid0(VALU_DEP_2) | instskip(NEXT) | instid1(VALU_DEP_1)
	v_mul_f64 v[1:2], v[13:14], |v[1:2]|
	v_cmp_lt_f64_e32 vcc_lo, v[17:18], v[1:2]
	v_dual_cndmask_b32 v2, v18, v2 :: v_dual_cndmask_b32 v1, v17, v1
	s_delay_alu instid0(VALU_DEP_1)
	v_cmp_nlt_f64_e32 vcc_lo, v[5:6], v[1:2]
	s_cbranch_vccnz .LBB17_69
; %bb.68:                               ;   in Loop: Header=BB17_37 Depth=2
	ds_store_b8 v22, v23 offset:6661
.LBB17_69:                              ;   in Loop: Header=BB17_37 Depth=2
	s_or_b32 exec_lo, exec_lo, s3
	s_waitcnt lgkmcnt(0)
	s_barrier
	buffer_gl0_inv
	ds_load_u8 v1, v22 offset:6660
	v_add_nc_u32_e32 v30, 1, v30
	s_waitcnt lgkmcnt(0)
	v_and_b32_e32 v1, 1, v1
	s_delay_alu instid0(VALU_DEP_1)
	v_cmp_eq_u32_e32 vcc_lo, 1, v1
	s_cbranch_vccnz .LBB17_35
; %bb.70:                               ;   in Loop: Header=BB17_37 Depth=2
	s_mov_b32 s4, -1
	s_mov_b32 s3, 0
	s_branch .LBB17_36
.LBB17_71:                              ;   in Loop: Header=BB17_4 Depth=1
	v_mov_b32_e32 v32, v25
	s_and_saveexec_b32 s4, s1
	s_cbranch_execnz .LBB17_74
	s_branch .LBB17_88
.LBB17_72:                              ;   in Loop: Header=BB17_4 Depth=1
	s_or_b32 exec_lo, exec_lo, s5
	s_delay_alu instid0(SALU_CYCLE_1)
	s_or_not1_b32 s3, s51, exec_lo
.LBB17_73:                              ;   in Loop: Header=BB17_4 Depth=1
	s_or_b32 exec_lo, exec_lo, s7
	s_and_saveexec_b32 s4, s1
	s_cbranch_execz .LBB17_88
.LBB17_74:                              ;   in Loop: Header=BB17_4 Depth=1
	s_and_saveexec_b32 s5, s3
	s_cbranch_execz .LBB17_87
; %bb.75:                               ;   in Loop: Header=BB17_4 Depth=1
	ds_load_u8 v1, v22 offset:6661
	s_mov_b32 s15, exec_lo
	s_waitcnt lgkmcnt(0)
	v_readfirstlane_b32 s3, v1
	s_delay_alu instid0(VALU_DEP_1)
	s_bitcmp1_b32 s3, 0
	s_cselect_b32 s7, -1, 0
	v_cmpx_lt_i32_e32 0, v31
	s_cbranch_execz .LBB17_84
; %bb.76:                               ;   in Loop: Header=BB17_4 Depth=1
	v_mov_b32_e32 v9, 0
	s_add_i32 s3, s14, 1
	s_not_b32 s39, s14
	s_and_b32 s41, s7, exec_lo
	s_cselect_b32 s41, s3, s39
	s_mov_b32 s39, 0
	s_mov_b32 s48, 0
.LBB17_77:                              ;   Parent Loop BB17_4 Depth=1
                                        ; =>  This Loop Header: Depth=2
                                        ;       Child Loop BB17_79 Depth 3
	s_delay_alu instid0(SALU_CYCLE_1) | instskip(SKIP_1) | instid1(VALU_DEP_1)
	v_lshl_add_u32 v1, s48, 1, v32
	s_mov_b32 s49, exec_lo
	v_ashrrev_i32_e32 v2, 31, v1
	s_delay_alu instid0(VALU_DEP_1) | instskip(NEXT) | instid1(VALU_DEP_1)
	v_lshlrev_b64 v[3:4], 2, v[1:2]
	v_add_co_u32 v3, vcc_lo, s74, v3
	s_delay_alu instid0(VALU_DEP_2) | instskip(SKIP_3) | instid1(VALU_DEP_1)
	v_add_co_ci_u32_e32 v4, vcc_lo, s75, v4, vcc_lo
	global_load_b64 v[3:4], v[3:4], off
	s_waitcnt vmcnt(0)
	v_sub_nc_u32_e32 v3, v4, v3
	v_cmpx_lt_i32_e32 0, v3
	s_cbranch_execz .LBB17_81
; %bb.78:                               ;   in Loop: Header=BB17_77 Depth=2
	v_lshlrev_b64 v[1:2], 3, v[1:2]
	s_mov_b32 s50, 0
	s_mov_b32 s51, 0
	s_delay_alu instid0(VALU_DEP_1) | instskip(NEXT) | instid1(VALU_DEP_2)
	v_add_co_u32 v1, vcc_lo, s72, v1
	v_add_co_ci_u32_e32 v2, vcc_lo, s73, v2, vcc_lo
	global_load_b128 v[5:8], v[1:2], off
	s_waitcnt vmcnt(0)
	v_add_f64 v[1:2], v[5:6], v[7:8]
	v_add_nc_u32_e32 v5, s38, v9
	s_delay_alu instid0(VALU_DEP_1) | instskip(NEXT) | instid1(VALU_DEP_1)
	v_ashrrev_i32_e32 v6, 31, v5
	v_lshlrev_b64 v[7:8], 3, v[5:6]
	v_lshlrev_b64 v[10:11], 2, v[5:6]
	s_delay_alu instid0(VALU_DEP_2) | instskip(NEXT) | instid1(VALU_DEP_3)
	v_add_co_u32 v5, vcc_lo, s64, v7
	v_add_co_ci_u32_e32 v6, vcc_lo, s65, v8, vcc_lo
	s_delay_alu instid0(VALU_DEP_3) | instskip(NEXT) | instid1(VALU_DEP_4)
	v_add_co_u32 v7, vcc_lo, s66, v10
	v_add_co_ci_u32_e32 v8, vcc_lo, s67, v11, vcc_lo
	v_mul_f64 v[1:2], v[1:2], 0.5
	.p2align	6
.LBB17_79:                              ;   Parent Loop BB17_4 Depth=1
                                        ;     Parent Loop BB17_77 Depth=2
                                        ; =>    This Inner Loop Header: Depth=3
	s_add_i32 s51, s51, 1
	s_delay_alu instid0(SALU_CYCLE_1)
	v_dual_mov_b32 v11, s41 :: v_dual_add_nc_u32 v10, s51, v9
	global_store_b64 v[5:6], v[1:2], off
	v_add_co_u32 v5, vcc_lo, v5, 8
	v_add_co_ci_u32_e32 v6, vcc_lo, 0, v6, vcc_lo
	v_cmp_ge_i32_e32 vcc_lo, s51, v3
	global_store_b32 v[7:8], v11, off
	v_add_co_u32 v7, s3, v7, 4
	s_delay_alu instid0(VALU_DEP_1) | instskip(SKIP_1) | instid1(SALU_CYCLE_1)
	v_add_co_ci_u32_e64 v8, s3, 0, v8, s3
	s_or_b32 s50, vcc_lo, s50
	s_and_not1_b32 exec_lo, exec_lo, s50
	s_cbranch_execnz .LBB17_79
; %bb.80:                               ;   in Loop: Header=BB17_77 Depth=2
	s_or_b32 exec_lo, exec_lo, s50
	v_mov_b32_e32 v9, v10
.LBB17_81:                              ;   in Loop: Header=BB17_77 Depth=2
	s_or_b32 exec_lo, exec_lo, s49
; %bb.82:                               ;   in Loop: Header=BB17_77 Depth=2
	s_add_i32 s48, s48, 1
	s_delay_alu instid0(SALU_CYCLE_1) | instskip(SKIP_1) | instid1(SALU_CYCLE_1)
	v_cmp_eq_u32_e32 vcc_lo, s48, v31
	s_or_b32 s39, vcc_lo, s39
	s_and_not1_b32 exec_lo, exec_lo, s39
	s_cbranch_execnz .LBB17_77
; %bb.83:                               ;   in Loop: Header=BB17_4 Depth=1
	s_or_b32 exec_lo, exec_lo, s39
.LBB17_84:                              ;   in Loop: Header=BB17_4 Depth=1
	s_delay_alu instid0(SALU_CYCLE_1)
	s_or_b32 exec_lo, exec_lo, s15
	s_xor_b32 s3, s7, -1
; %bb.85:                               ;   in Loop: Header=BB17_4 Depth=1
	s_delay_alu instid0(SALU_CYCLE_1)
	s_and_b32 vcc_lo, exec_lo, s3
	s_cbranch_vccz .LBB17_87
; %bb.86:                               ;   in Loop: Header=BB17_4 Depth=1
	global_store_b32 v22, v23, s[10:11]
.LBB17_87:                              ;   in Loop: Header=BB17_4 Depth=1
	s_or_b32 exec_lo, exec_lo, s5
.LBB17_88:                              ;   in Loop: Header=BB17_4 Depth=1
	s_delay_alu instid0(SALU_CYCLE_1)
	s_or_b32 exec_lo, exec_lo, s4
	s_branch .LBB17_3
.LBB17_89:                              ;   in Loop: Header=BB17_4 Depth=1
	s_and_saveexec_b32 s3, s1
	s_cbranch_execz .LBB17_2
; %bb.90:                               ;   in Loop: Header=BB17_4 Depth=1
	s_ashr_i32 s39, s38, 31
	s_delay_alu instid0(SALU_CYCLE_1) | instskip(NEXT) | instid1(SALU_CYCLE_1)
	s_lshl_b64 s[4:5], s[38:39], 3
	s_add_u32 s48, s60, s4
	s_addc_u32 s49, s61, s5
	s_and_not1_b32 vcc_lo, exec_lo, s12
	global_load_b64 v[1:2], v22, s[48:49]
	s_cbranch_vccnz .LBB17_94
; %bb.91:                               ;   in Loop: Header=BB17_4 Depth=1
	global_load_b64 v[5:6], v22, s[16:17]
	s_waitcnt vmcnt(1)
	v_add_f64 v[3:4], v[1:2], -s[18:19]
	s_mov_b32 s7, 0
	s_waitcnt vmcnt(0)
	s_delay_alu instid0(VALU_DEP_1)
	v_cmp_lt_f64_e32 vcc_lo, v[5:6], v[3:4]
	v_cmp_nlt_f64_e64 s15, v[5:6], v[3:4]
	s_cbranch_vccnz .LBB17_95
; %bb.92:                               ;   in Loop: Header=BB17_4 Depth=1
	s_delay_alu instid0(VALU_DEP_1)
	s_and_not1_b32 vcc_lo, exec_lo, s15
	s_cbranch_vccz .LBB17_96
.LBB17_93:                              ;   in Loop: Header=BB17_4 Depth=1
	s_and_b32 vcc_lo, exec_lo, s7
	s_cbranch_vccz .LBB17_2
	s_branch .LBB17_97
.LBB17_94:                              ;   in Loop: Header=BB17_4 Depth=1
	s_cbranch_execz .LBB17_2
	s_branch .LBB17_97
.LBB17_95:                              ;   in Loop: Header=BB17_4 Depth=1
	global_load_b64 v[5:6], v22, s[16:17] offset:8
	s_mov_b32 s7, -1
	s_waitcnt vmcnt(0)
	v_cmp_nge_f64_e64 s15, v[5:6], v[3:4]
	s_delay_alu instid0(VALU_DEP_1)
	s_and_not1_b32 vcc_lo, exec_lo, s15
	s_cbranch_vccnz .LBB17_93
.LBB17_96:                              ;   in Loop: Header=BB17_4 Depth=1
	s_add_u32 s48, s76, s42
	s_addc_u32 s49, s77, s43
	global_store_b32 v22, v22, s[48:49]
	s_branch .LBB17_2
.LBB17_97:                              ;   in Loop: Header=BB17_4 Depth=1
	s_add_u32 s4, s64, s4
	s_addc_u32 s5, s65, s5
	s_add_u32 s42, s76, s42
	s_addc_u32 s43, s77, s43
	s_add_i32 s7, s14, 1
	s_lshl_b64 s[38:39], s[38:39], 2
	v_mov_b32_e32 v3, s7
	s_add_u32 s38, s66, s38
	s_addc_u32 s39, s67, s39
	s_waitcnt vmcnt(0)
	s_clause 0x2
	global_store_b64 v22, v[1:2], s[4:5]
	global_store_b32 v22, v23, s[42:43]
	global_store_b32 v22, v3, s[38:39]
	s_branch .LBB17_2
.LBB17_98:
	s_endpgm
	.section	.rodata,"a",@progbits
	.p2align	6, 0x0
	.amdhsa_kernel _ZN9rocsolver6v33100L22stebz_bisection_kernelIdPdEEv15rocblas_erange_iT_T0_iiS5_iiPiPS4_lS6_lS6_lS6_S6_S7_S7_S7_S7_S6_S4_S4_
		.amdhsa_group_segment_fixed_size 6664
		.amdhsa_private_segment_fixed_size 0
		.amdhsa_kernarg_size 176
		.amdhsa_user_sgpr_count 14
		.amdhsa_user_sgpr_dispatch_ptr 0
		.amdhsa_user_sgpr_queue_ptr 0
		.amdhsa_user_sgpr_kernarg_segment_ptr 1
		.amdhsa_user_sgpr_dispatch_id 0
		.amdhsa_user_sgpr_private_segment_size 0
		.amdhsa_wavefront_size32 1
		.amdhsa_uses_dynamic_stack 0
		.amdhsa_enable_private_segment 0
		.amdhsa_system_sgpr_workgroup_id_x 1
		.amdhsa_system_sgpr_workgroup_id_y 1
		.amdhsa_system_sgpr_workgroup_id_z 0
		.amdhsa_system_sgpr_workgroup_info 0
		.amdhsa_system_vgpr_workitem_id 0
		.amdhsa_next_free_vgpr 46
		.amdhsa_next_free_sgpr 91
		.amdhsa_reserve_vcc 1
		.amdhsa_float_round_mode_32 0
		.amdhsa_float_round_mode_16_64 0
		.amdhsa_float_denorm_mode_32 3
		.amdhsa_float_denorm_mode_16_64 3
		.amdhsa_dx10_clamp 1
		.amdhsa_ieee_mode 1
		.amdhsa_fp16_overflow 0
		.amdhsa_workgroup_processor_mode 1
		.amdhsa_memory_ordered 1
		.amdhsa_forward_progress 0
		.amdhsa_shared_vgpr_count 0
		.amdhsa_exception_fp_ieee_invalid_op 0
		.amdhsa_exception_fp_denorm_src 0
		.amdhsa_exception_fp_ieee_div_zero 0
		.amdhsa_exception_fp_ieee_overflow 0
		.amdhsa_exception_fp_ieee_underflow 0
		.amdhsa_exception_fp_ieee_inexact 0
		.amdhsa_exception_int_div_zero 0
	.end_amdhsa_kernel
	.section	.text._ZN9rocsolver6v33100L22stebz_bisection_kernelIdPdEEv15rocblas_erange_iT_T0_iiS5_iiPiPS4_lS6_lS6_lS6_S6_S7_S7_S7_S7_S6_S4_S4_,"axG",@progbits,_ZN9rocsolver6v33100L22stebz_bisection_kernelIdPdEEv15rocblas_erange_iT_T0_iiS5_iiPiPS4_lS6_lS6_lS6_S6_S7_S7_S7_S7_S6_S4_S4_,comdat
.Lfunc_end17:
	.size	_ZN9rocsolver6v33100L22stebz_bisection_kernelIdPdEEv15rocblas_erange_iT_T0_iiS5_iiPiPS4_lS6_lS6_lS6_S6_S7_S7_S7_S7_S6_S4_S4_, .Lfunc_end17-_ZN9rocsolver6v33100L22stebz_bisection_kernelIdPdEEv15rocblas_erange_iT_T0_iiS5_iiPiPS4_lS6_lS6_lS6_S6_S7_S7_S7_S7_S6_S4_S4_
                                        ; -- End function
	.section	.AMDGPU.csdata,"",@progbits
; Kernel info:
; codeLenInByte = 6372
; NumSgprs: 93
; NumVgprs: 46
; ScratchSize: 0
; MemoryBound: 0
; FloatMode: 240
; IeeeMode: 1
; LDSByteSize: 6664 bytes/workgroup (compile time only)
; SGPRBlocks: 11
; VGPRBlocks: 5
; NumSGPRsForWavesPerEU: 93
; NumVGPRsForWavesPerEU: 46
; Occupancy: 16
; WaveLimiterHint : 1
; COMPUTE_PGM_RSRC2:SCRATCH_EN: 0
; COMPUTE_PGM_RSRC2:USER_SGPR: 14
; COMPUTE_PGM_RSRC2:TRAP_HANDLER: 0
; COMPUTE_PGM_RSRC2:TGID_X_EN: 1
; COMPUTE_PGM_RSRC2:TGID_Y_EN: 1
; COMPUTE_PGM_RSRC2:TGID_Z_EN: 0
; COMPUTE_PGM_RSRC2:TIDIG_COMP_CNT: 0
	.section	.text._ZN9rocsolver6v33100L22stebz_synthesis_kernelIdPdEEv15rocblas_erange_15rocblas_eorder_iiiT0_iiPiS6_PT_lS6_lS6_liS6_S8_S8_S8_S8_S6_S7_,"axG",@progbits,_ZN9rocsolver6v33100L22stebz_synthesis_kernelIdPdEEv15rocblas_erange_15rocblas_eorder_iiiT0_iiPiS6_PT_lS6_lS6_liS6_S8_S8_S8_S8_S6_S7_,comdat
	.globl	_ZN9rocsolver6v33100L22stebz_synthesis_kernelIdPdEEv15rocblas_erange_15rocblas_eorder_iiiT0_iiPiS6_PT_lS6_lS6_liS6_S8_S8_S8_S8_S6_S7_ ; -- Begin function _ZN9rocsolver6v33100L22stebz_synthesis_kernelIdPdEEv15rocblas_erange_15rocblas_eorder_iiiT0_iiPiS6_PT_lS6_lS6_liS6_S8_S8_S8_S8_S6_S7_
	.p2align	8
	.type	_ZN9rocsolver6v33100L22stebz_synthesis_kernelIdPdEEv15rocblas_erange_15rocblas_eorder_iiiT0_iiPiS6_PT_lS6_lS6_liS6_S8_S8_S8_S8_S6_S7_,@function
_ZN9rocsolver6v33100L22stebz_synthesis_kernelIdPdEEv15rocblas_erange_15rocblas_eorder_iiiT0_iiPiS6_PT_lS6_lS6_liS6_S8_S8_S8_S8_S6_S7_: ; @_ZN9rocsolver6v33100L22stebz_synthesis_kernelIdPdEEv15rocblas_erange_15rocblas_eorder_iiiT0_iiPiS6_PT_lS6_lS6_liS6_S8_S8_S8_S8_S6_S7_
; %bb.0:
	s_clause 0x1
	s_load_b32 s2, s[0:1], 0xb4
	s_load_b32 s3, s[0:1], 0x68
	s_waitcnt lgkmcnt(0)
	s_and_b32 s2, s2, 0xffff
	s_delay_alu instid0(SALU_CYCLE_1) | instskip(SKIP_1) | instid1(VALU_DEP_1)
	v_mad_u64_u32 v[4:5], null, s15, s2, v[0:1]
	s_mov_b32 s2, exec_lo
	v_cmpx_gt_i32_e64 s3, v4
	s_cbranch_execz .LBB18_61
; %bb.1:
	s_load_b512 s[4:19], s[0:1], 0x28
	v_ashrrev_i32_e32 v5, 31, v4
	s_load_b256 s[20:27], s[0:1], 0x70
	s_delay_alu instid0(VALU_DEP_1) | instskip(SKIP_1) | instid1(VALU_DEP_1)
	v_lshlrev_b64 v[2:3], 2, v[4:5]
	s_waitcnt lgkmcnt(0)
	v_add_co_u32 v0, vcc_lo, s6, v2
	s_delay_alu instid0(VALU_DEP_2)
	v_add_co_ci_u32_e32 v1, vcc_lo, s7, v3, vcc_lo
	v_mul_lo_u32 v10, v4, s11
	v_mul_lo_u32 v11, v5, s10
	;; [unrolled: 1-line block ×3, first 2 shown]
	global_load_b32 v25, v[0:1], off
	s_clause 0x1
	s_load_b128 s[28:31], s[0:1], 0x0
	s_load_b32 s33, s[0:1], 0x10
	v_mad_u64_u32 v[0:1], null, v4, s10, 0
	v_mul_lo_u32 v14, v5, s14
	v_mad_u64_u32 v[6:7], null, v4, s14, 0
	v_mul_lo_u32 v15, v4, s19
	v_mul_lo_u32 v16, v5, s18
	v_mad_u64_u32 v[8:9], null, v4, s18, 0
	v_add3_u32 v1, v1, v10, v11
	v_add3_u32 v7, v7, v13, v14
	s_delay_alu instid0(VALU_DEP_2) | instskip(NEXT) | instid1(VALU_DEP_4)
	v_lshlrev_b64 v[0:1], 3, v[0:1]
	v_add3_u32 v9, v9, v15, v16
	s_delay_alu instid0(VALU_DEP_3)
	v_lshlrev_b64 v[10:11], 2, v[6:7]
	s_waitcnt lgkmcnt(0)
	v_mul_lo_u32 v12, v4, s30
	s_cmpk_eq_i32 s28, 0xe9
	v_lshlrev_b64 v[6:7], 2, v[8:9]
	v_add_co_u32 v28, vcc_lo, s8, v0
	v_add_co_ci_u32_e32 v29, vcc_lo, s9, v1, vcc_lo
	v_add_co_u32 v30, vcc_lo, s12, v10
	v_ashrrev_i32_e32 v13, 31, v12
	v_add_co_ci_u32_e32 v31, vcc_lo, s13, v11, vcc_lo
	v_add_co_u32 v20, vcc_lo, s16, v6
	s_delay_alu instid0(VALU_DEP_3) | instskip(SKIP_1) | instid1(VALU_DEP_2)
	v_lshlrev_b64 v[8:9], 2, v[12:13]
	v_add_co_ci_u32_e32 v21, vcc_lo, s17, v7, vcc_lo
	v_add_co_u32 v26, vcc_lo, s20, v8
	s_delay_alu instid0(VALU_DEP_3)
	v_add_co_ci_u32_e32 v27, vcc_lo, s21, v9, vcc_lo
	s_waitcnt vmcnt(0)
	v_cmp_lt_i32_e32 vcc_lo, 0, v25
	v_cmp_gt_i32_e64 s2, 1, v25
	s_cbranch_scc1 .LBB18_12
; %bb.2:
	v_mov_b32_e32 v8, 0
	s_and_saveexec_b32 s14, vcc_lo
	s_cbranch_execz .LBB18_14
; %bb.3:
	v_add_co_u32 v22, vcc_lo, v20, -4
	v_add_co_ci_u32_e32 v23, vcc_lo, -1, v21, vcc_lo
	v_add_co_u32 v24, vcc_lo, s8, v0
	v_add_co_ci_u32_e32 v32, vcc_lo, s9, v1, vcc_lo
	v_add_co_u32 v33, vcc_lo, s12, v10
	v_add_co_ci_u32_e32 v34, vcc_lo, s13, v11, vcc_lo
	v_mov_b32_e32 v8, 0
	s_mov_b32 s7, 0
	s_mov_b32 s15, 0
	;; [unrolled: 1-line block ×3, first 2 shown]
	s_branch .LBB18_5
.LBB18_4:                               ;   in Loop: Header=BB18_5 Depth=1
	s_or_b32 exec_lo, exec_lo, s10
	s_add_i32 s6, s6, 1
	s_delay_alu instid0(SALU_CYCLE_1) | instskip(SKIP_1) | instid1(SALU_CYCLE_1)
	v_cmp_eq_u32_e32 vcc_lo, s6, v25
	s_or_b32 s15, vcc_lo, s15
	s_and_not1_b32 exec_lo, exec_lo, s15
	s_cbranch_execz .LBB18_13
.LBB18_5:                               ; =>This Loop Header: Depth=1
                                        ;     Child Loop BB18_10 Depth 2
	s_cmp_eq_u32 s6, 0
	s_cbranch_scc1 .LBB18_7
; %bb.6:                                ;   in Loop: Header=BB18_5 Depth=1
	s_lshl_b64 s[10:11], s[6:7], 2
	s_delay_alu instid0(SALU_CYCLE_1)
	v_add_co_u32 v6, vcc_lo, v22, s10
	v_add_co_ci_u32_e32 v7, vcc_lo, s11, v23, vcc_lo
	s_mov_b64 s[10:11], s[6:7]
	global_load_b32 v12, v[6:7], off
	s_branch .LBB18_8
.LBB18_7:                               ;   in Loop: Header=BB18_5 Depth=1
	v_mov_b32_e32 v12, 0
	s_mov_b64 s[10:11], 0
.LBB18_8:                               ;   in Loop: Header=BB18_5 Depth=1
	s_delay_alu instid0(SALU_CYCLE_1) | instskip(NEXT) | instid1(SALU_CYCLE_1)
	s_lshl_b64 s[10:11], s[10:11], 2
	v_add_co_u32 v6, vcc_lo, v26, s10
	v_add_co_ci_u32_e32 v7, vcc_lo, s11, v27, vcc_lo
	s_mov_b32 s10, exec_lo
	global_load_b32 v9, v[6:7], off
	s_waitcnt vmcnt(0)
	v_cmpx_lt_i32_e32 0, v9
	s_cbranch_execz .LBB18_4
; %bb.9:                                ;   in Loop: Header=BB18_5 Depth=1
	v_ashrrev_i32_e32 v13, 31, v12
	v_ashrrev_i32_e32 v9, 31, v8
	s_mov_b32 s11, 0
	s_mov_b32 s16, 0
	s_delay_alu instid0(VALU_DEP_2) | instskip(SKIP_3) | instid1(VALU_DEP_4)
	v_lshlrev_b64 v[14:15], 3, v[12:13]
	v_lshlrev_b64 v[16:17], 2, v[12:13]
	;; [unrolled: 1-line block ×4, first 2 shown]
	v_add_co_u32 v12, vcc_lo, v24, v14
	v_add_co_ci_u32_e32 v13, vcc_lo, v32, v15, vcc_lo
	v_add_co_u32 v14, vcc_lo, v33, v16
	v_add_co_ci_u32_e32 v15, vcc_lo, v34, v17, vcc_lo
	;; [unrolled: 2-line block ×4, first 2 shown]
	.p2align	6
.LBB18_10:                              ;   Parent Loop BB18_5 Depth=1
                                        ; =>  This Inner Loop Header: Depth=2
	global_load_b32 v9, v[14:15], off
	s_add_i32 s16, s16, 1
	s_waitcnt vmcnt(0)
	global_store_b32 v[18:19], v9, off
	global_load_b32 v37, v[6:7], off
	global_load_b64 v[35:36], v[12:13], off
	v_add_co_u32 v12, vcc_lo, v12, 8
	v_add_co_ci_u32_e32 v13, vcc_lo, 0, v13, vcc_lo
	v_add_co_u32 v14, vcc_lo, v14, 4
	v_add_co_ci_u32_e32 v15, vcc_lo, 0, v15, vcc_lo
	v_add_co_u32 v18, s3, v18, 4
	v_add_nc_u32_e32 v9, s16, v8
	v_add_co_ci_u32_e64 v19, s3, 0, v19, s3
	s_waitcnt vmcnt(0)
	global_store_b64 v[16:17], v[35:36], off
	v_add_co_u32 v16, vcc_lo, v16, 8
	v_add_co_ci_u32_e32 v17, vcc_lo, 0, v17, vcc_lo
	v_cmp_ge_i32_e32 vcc_lo, s16, v37
	s_or_b32 s11, vcc_lo, s11
	s_delay_alu instid0(SALU_CYCLE_1)
	s_and_not1_b32 exec_lo, exec_lo, s11
	s_cbranch_execnz .LBB18_10
; %bb.11:                               ;   in Loop: Header=BB18_5 Depth=1
	s_or_b32 exec_lo, exec_lo, s11
	v_mov_b32_e32 v8, v9
	s_branch .LBB18_4
.LBB18_12:
                                        ; implicit-def: $vgpr8
	s_branch .LBB18_15
.LBB18_13:
	s_or_b32 exec_lo, exec_lo, s15
.LBB18_14:
	s_delay_alu instid0(SALU_CYCLE_1)
	s_or_b32 exec_lo, exec_lo, s14
	s_cbranch_execnz .LBB18_53
.LBB18_15:
	v_lshlrev_b64 v[5:6], 3, v[4:5]
	s_load_b128 s[16:19], s[0:1], 0x90
	v_lshlrev_b32_e32 v12, 1, v4
                                        ; implicit-def: $sgpr3
                                        ; implicit-def: $sgpr6_sgpr7
	s_delay_alu instid0(VALU_DEP_2) | instskip(NEXT) | instid1(VALU_DEP_3)
	v_add_co_u32 v5, vcc_lo, s22, v5
	v_add_co_ci_u32_e32 v6, vcc_lo, s23, v6, vcc_lo
	s_delay_alu instid0(VALU_DEP_3) | instskip(SKIP_3) | instid1(SALU_CYCLE_1)
	v_mul_lo_u32 v8, v12, s30
	global_load_b64 v[5:6], v[5:6], off
	v_ashrrev_i32_e32 v9, 31, v8
	s_and_saveexec_b32 s10, s2
	s_xor_b32 s2, exec_lo, s10
; %bb.16:
	s_ashr_i32 s7, s30, 31
	s_mov_b32 s6, s30
	s_mov_b32 s3, 0
                                        ; implicit-def: $vgpr25
                                        ; implicit-def: $vgpr26
                                        ; implicit-def: $vgpr27
                                        ; implicit-def: $vgpr20
                                        ; implicit-def: $vgpr21
                                        ; implicit-def: $vgpr10_vgpr11
; %bb.17:
	s_or_saveexec_b32 s20, s2
	v_lshlrev_b64 v[13:14], 3, v[8:9]
	v_lshlrev_b64 v[15:16], 2, v[8:9]
	v_mov_b32_e32 v9, s7
	v_dual_mov_b32 v7, s3 :: v_dual_mov_b32 v8, s6
	s_xor_b32 exec_lo, exec_lo, s20
	s_cbranch_execz .LBB18_28
; %bb.18:
	v_add_co_u32 v32, vcc_lo, v20, -4
	v_add_co_ci_u32_e32 v33, vcc_lo, -1, v21, vcc_lo
	v_add_co_u32 v34, vcc_lo, s8, v0
	v_add_co_ci_u32_e32 v35, vcc_lo, s9, v1, vcc_lo
	v_add_co_u32 v36, vcc_lo, s12, v10
	v_add_co_ci_u32_e32 v11, vcc_lo, s13, v11, vcc_lo
	s_waitcnt lgkmcnt(0)
	v_add_co_u32 v37, vcc_lo, s16, v13
	v_add_co_ci_u32_e32 v38, vcc_lo, s17, v14, vcc_lo
	v_add_co_u32 v39, vcc_lo, s18, v15
	v_add_co_ci_u32_e32 v40, vcc_lo, s19, v16, vcc_lo
	v_mov_b32_e32 v7, 0
	s_ashr_i32 s7, s30, 31
	s_mov_b32 s6, s30
	s_mov_b32 s15, 0
	s_lshl_b64 s[10:11], s[6:7], 3
	s_mov_b32 s21, 0
	s_mov_b32 s14, s15
	s_branch .LBB18_20
.LBB18_19:                              ;   in Loop: Header=BB18_20 Depth=1
	s_or_b32 exec_lo, exec_lo, s3
	s_add_i32 s14, s14, 1
	s_delay_alu instid0(SALU_CYCLE_1) | instskip(SKIP_1) | instid1(SALU_CYCLE_1)
	v_cmp_eq_u32_e32 vcc_lo, s14, v25
	s_or_b32 s21, vcc_lo, s21
	s_and_not1_b32 exec_lo, exec_lo, s21
	s_cbranch_execz .LBB18_27
.LBB18_20:                              ; =>This Loop Header: Depth=1
                                        ;     Child Loop BB18_25 Depth 2
	s_cmp_eq_u32 s14, 0
	s_cbranch_scc1 .LBB18_22
; %bb.21:                               ;   in Loop: Header=BB18_20 Depth=1
	s_lshl_b64 s[2:3], s[14:15], 2
	s_delay_alu instid0(SALU_CYCLE_1)
	v_add_co_u32 v8, vcc_lo, v32, s2
	v_add_co_ci_u32_e32 v9, vcc_lo, s3, v33, vcc_lo
	s_mov_b64 s[2:3], s[14:15]
	global_load_b32 v17, v[8:9], off
	s_branch .LBB18_23
.LBB18_22:                              ;   in Loop: Header=BB18_20 Depth=1
	v_mov_b32_e32 v17, 0
	s_mov_b64 s[2:3], 0
.LBB18_23:                              ;   in Loop: Header=BB18_20 Depth=1
	s_delay_alu instid0(SALU_CYCLE_1) | instskip(NEXT) | instid1(SALU_CYCLE_1)
	s_lshl_b64 s[2:3], s[2:3], 2
	v_add_co_u32 v9, vcc_lo, v26, s2
	v_add_co_ci_u32_e32 v10, vcc_lo, s3, v27, vcc_lo
	s_mov_b32 s3, exec_lo
	global_load_b32 v8, v[9:10], off
	s_waitcnt vmcnt(0)
	v_cmpx_lt_i32_e32 0, v8
	s_cbranch_execz .LBB18_19
; %bb.24:                               ;   in Loop: Header=BB18_20 Depth=1
	v_ashrrev_i32_e32 v18, 31, v17
	v_ashrrev_i32_e32 v8, 31, v7
	s_mov_b32 s22, 0
	s_mov_b32 s23, 0
	s_delay_alu instid0(VALU_DEP_2) | instskip(SKIP_3) | instid1(VALU_DEP_4)
	v_lshlrev_b64 v[19:20], 3, v[17:18]
	v_lshlrev_b64 v[21:22], 2, v[17:18]
	;; [unrolled: 1-line block ×4, first 2 shown]
	v_add_co_u32 v17, vcc_lo, v34, v19
	v_add_co_ci_u32_e32 v18, vcc_lo, v35, v20, vcc_lo
	v_add_co_u32 v19, vcc_lo, v36, v21
	v_add_co_ci_u32_e32 v20, vcc_lo, v11, v22, vcc_lo
	v_add_co_u32 v21, vcc_lo, v37, v23
	v_add_co_ci_u32_e32 v22, vcc_lo, v38, v24, vcc_lo
	v_add_co_u32 v23, vcc_lo, v39, v41
	v_add_co_ci_u32_e32 v24, vcc_lo, v40, v42, vcc_lo
	s_set_inst_prefetch_distance 0x1
	.p2align	6
.LBB18_25:                              ;   Parent Loop BB18_20 Depth=1
                                        ; =>  This Inner Loop Header: Depth=2
	global_load_b32 v8, v[19:20], off
	v_add_co_u32 v43, vcc_lo, v21, s10
	v_add_co_ci_u32_e32 v44, vcc_lo, s11, v22, vcc_lo
	s_add_i32 s23, s23, 1
	s_waitcnt vmcnt(0)
	global_store_b32 v[23:24], v8, off
	global_load_b32 v45, v[9:10], off
	global_load_b64 v[41:42], v[17:18], off
	v_add_co_u32 v17, vcc_lo, v17, 8
	v_add_co_ci_u32_e32 v18, vcc_lo, 0, v18, vcc_lo
	v_add_co_u32 v19, vcc_lo, v19, 4
	v_add_co_ci_u32_e32 v20, vcc_lo, 0, v20, vcc_lo
	v_add_co_u32 v23, s2, v23, 4
	v_add_nc_u32_e32 v8, s23, v7
	v_add_co_ci_u32_e64 v24, s2, 0, v24, s2
	s_waitcnt vmcnt(0)
	global_store_b64 v[21:22], v[41:42], off
	v_add_co_u32 v21, vcc_lo, v21, 8
	v_add_co_ci_u32_e32 v22, vcc_lo, 0, v22, vcc_lo
	v_cmp_ge_i32_e32 vcc_lo, s23, v45
	global_store_b64 v[43:44], v[41:42], off
	s_or_b32 s22, vcc_lo, s22
	s_delay_alu instid0(SALU_CYCLE_1)
	s_and_not1_b32 exec_lo, exec_lo, s22
	s_cbranch_execnz .LBB18_25
; %bb.26:                               ;   in Loop: Header=BB18_20 Depth=1
	s_set_inst_prefetch_distance 0x2
	s_or_b32 exec_lo, exec_lo, s22
	v_mov_b32_e32 v7, v8
	s_branch .LBB18_19
.LBB18_27:
	s_or_b32 exec_lo, exec_lo, s21
	v_dual_mov_b32 v9, s7 :: v_dual_mov_b32 v8, s6
.LBB18_28:
	s_or_b32 exec_lo, exec_lo, s20
; %bb.29:
	s_waitcnt lgkmcnt(0)
	v_add_co_u32 v32, vcc_lo, s16, v13
	s_delay_alu instid0(VALU_DEP_2) | instskip(SKIP_3) | instid1(VALU_DEP_4)
	v_lshlrev_b64 v[17:18], 3, v[8:9]
	v_add_co_ci_u32_e32 v33, vcc_lo, s17, v14, vcc_lo
	v_add_co_u32 v34, vcc_lo, s18, v15
	v_add_co_ci_u32_e32 v35, vcc_lo, s19, v16, vcc_lo
	v_add_co_u32 v10, vcc_lo, v32, v17
	s_delay_alu instid0(VALU_DEP_4)
	v_add_co_ci_u32_e32 v11, vcc_lo, v33, v18, vcc_lo
	s_mov_b32 s6, 1
	s_mov_b32 s10, exec_lo
	v_cmpx_lt_i32_e32 1, v7
	s_cbranch_execz .LBB18_37
; %bb.30:
	v_lshlrev_b64 v[8:9], 2, v[8:9]
	s_cmp_lg_u64 s[18:19], 0
	s_mov_b32 s14, 0
	s_cselect_b32 s11, -1, 0
	s_delay_alu instid0(VALU_DEP_1) | instskip(NEXT) | instid1(VALU_DEP_2)
	v_add_co_u32 v23, vcc_lo, v34, v8
	v_add_co_ci_u32_e32 v24, vcc_lo, v35, v9, vcc_lo
	v_add_co_u32 v8, vcc_lo, v17, v13
	v_add_co_ci_u32_e32 v9, vcc_lo, v18, v14, vcc_lo
	v_add_co_u32 v25, vcc_lo, v10, -8
	v_add_co_ci_u32_e32 v26, vcc_lo, -1, v11, vcc_lo
	s_delay_alu instid0(VALU_DEP_4) | instskip(NEXT) | instid1(VALU_DEP_4)
	v_add_co_u32 v8, vcc_lo, v8, s16
	v_add_co_ci_u32_e32 v9, vcc_lo, s17, v9, vcc_lo
	v_add_co_u32 v27, vcc_lo, v23, -4
	v_add_co_ci_u32_e32 v36, vcc_lo, -1, v24, vcc_lo
	s_delay_alu instid0(VALU_DEP_4) | instskip(NEXT) | instid1(VALU_DEP_4)
	v_add_co_u32 v8, vcc_lo, v8, 8
	v_add_co_ci_u32_e32 v9, vcc_lo, 0, v9, vcc_lo
	s_branch .LBB18_32
.LBB18_31:                              ;   in Loop: Header=BB18_32 Depth=1
	s_or_b32 exec_lo, exec_lo, s2
	s_add_i32 s6, s6, 1
	v_add_co_u32 v8, s2, v8, 8
	v_cmp_eq_u32_e32 vcc_lo, s6, v7
	v_add_co_ci_u32_e64 v9, s2, 0, v9, s2
	s_or_b32 s14, vcc_lo, s14
	s_delay_alu instid0(SALU_CYCLE_1)
	s_and_not1_b32 exec_lo, exec_lo, s14
	s_cbranch_execz .LBB18_37
.LBB18_32:                              ; =>This Loop Header: Depth=1
                                        ;     Child Loop BB18_33 Depth 2
	s_ashr_i32 s7, s6, 31
	s_add_i32 s15, s6, -1
	s_lshl_b64 s[2:3], s[6:7], 3
	v_dual_mov_b32 v13, s15 :: v_dual_mov_b32 v22, v9
	v_add_co_u32 v15, vcc_lo, v25, s2
	v_add_co_ci_u32_e32 v16, vcc_lo, s3, v26, vcc_lo
	s_mov_b32 s16, 0
	s_mov_b32 s17, s6
	global_load_b64 v[17:18], v[15:16], off
	s_waitcnt vmcnt(0)
	v_dual_mov_b32 v21, v8 :: v_dual_mov_b32 v20, v18
	v_mov_b32_e32 v19, v17
	.p2align	6
.LBB18_33:                              ;   Parent Loop BB18_32 Depth=1
                                        ; =>  This Inner Loop Header: Depth=2
	global_load_b64 v[37:38], v[21:22], off
	v_add_co_u32 v21, s2, v21, 8
	s_delay_alu instid0(VALU_DEP_1)
	v_add_co_ci_u32_e64 v22, s2, 0, v22, s2
	s_waitcnt vmcnt(0)
	v_cmp_lt_f64_e32 vcc_lo, v[37:38], v[19:20]
	v_cndmask_b32_e64 v13, v13, s17, vcc_lo
	s_add_i32 s17, s17, 1
	v_dual_cndmask_b32 v20, v20, v38 :: v_dual_cndmask_b32 v19, v19, v37
	v_cmp_ge_i32_e64 s3, s17, v7
	s_delay_alu instid0(VALU_DEP_1) | instskip(NEXT) | instid1(SALU_CYCLE_1)
	s_or_b32 s16, s3, s16
	s_and_not1_b32 exec_lo, exec_lo, s16
	s_cbranch_execnz .LBB18_33
; %bb.34:                               ;   in Loop: Header=BB18_32 Depth=1
	s_or_b32 exec_lo, exec_lo, s16
	s_delay_alu instid0(SALU_CYCLE_1)
	s_mov_b32 s2, exec_lo
	v_cmpx_ne_u32_e64 s15, v13
	s_cbranch_execz .LBB18_31
; %bb.35:                               ;   in Loop: Header=BB18_32 Depth=1
	v_ashrrev_i32_e32 v14, 31, v13
	s_delay_alu instid0(VALU_DEP_1) | instskip(NEXT) | instid1(VALU_DEP_1)
	v_lshlrev_b64 v[21:22], 3, v[13:14]
	v_add_co_u32 v21, vcc_lo, v10, v21
	s_delay_alu instid0(VALU_DEP_2)
	v_add_co_ci_u32_e32 v22, vcc_lo, v11, v22, vcc_lo
	s_and_not1_b32 vcc_lo, exec_lo, s11
	s_clause 0x1
	global_store_b64 v[21:22], v[17:18], off
	global_store_b64 v[15:16], v[19:20], off
	s_cbranch_vccnz .LBB18_31
; %bb.36:                               ;   in Loop: Header=BB18_32 Depth=1
	v_lshlrev_b64 v[13:14], 2, v[13:14]
	s_lshl_b64 s[16:17], s[6:7], 2
	s_delay_alu instid0(SALU_CYCLE_1) | instskip(SKIP_1) | instid1(VALU_DEP_3)
	v_add_co_u32 v15, vcc_lo, v27, s16
	v_add_co_ci_u32_e32 v16, vcc_lo, s17, v36, vcc_lo
	v_add_co_u32 v13, vcc_lo, v23, v13
	s_delay_alu instid0(VALU_DEP_4)
	v_add_co_ci_u32_e32 v14, vcc_lo, v24, v14, vcc_lo
	s_clause 0x1
	global_load_b32 v17, v[15:16], off
	global_load_b32 v18, v[13:14], off
	s_waitcnt vmcnt(1)
	global_store_b32 v[13:14], v17, off
	s_waitcnt vmcnt(0)
	global_store_b32 v[15:16], v18, off
	s_branch .LBB18_31
.LBB18_37:
	s_or_b32 exec_lo, exec_lo, s10
	v_mov_b32_e32 v8, 0
	s_mov_b32 s3, 0
	s_mov_b32 s6, exec_lo
	v_cmpx_lt_i32_e32 0, v7
	s_cbranch_execz .LBB18_52
; %bb.38:
	s_load_b128 s[16:19], s[0:1], 0x18
	v_ashrrev_i32_e32 v13, 31, v12
	v_add_nc_u32_e32 v36, -1, v7
	v_mov_b32_e32 v8, 0
	s_waitcnt vmcnt(0)
	v_xor_b32_e32 v38, 0x80000000, v6
	s_mov_b32 s10, 0
	v_lshlrev_b64 v[12:13], 3, v[12:13]
	s_waitcnt lgkmcnt(0)
	s_ashr_i32 s1, s18, 31
	s_mov_b32 s0, s18
	v_mad_i64_i32 v[14:15], null, v4, s19, 0
	s_lshl_b64 s[0:1], s[0:1], 3
	s_delay_alu instid0(SALU_CYCLE_1) | instskip(SKIP_4) | instid1(VALU_DEP_2)
	s_add_u32 s0, s16, s0
	s_addc_u32 s2, s17, s1
	s_add_i32 s1, s30, -1
	s_cmp_gt_i32 s30, 1
	v_mul_lo_u32 v16, v4, s1
	v_lshlrev_b64 v[14:15], 3, v[14:15]
	v_add_co_u32 v4, vcc_lo, s26, v12
	v_add_co_ci_u32_e32 v37, vcc_lo, s27, v13, vcc_lo
	s_cselect_b32 s7, -1, 0
	s_delay_alu instid0(VALU_DEP_3) | instskip(SKIP_2) | instid1(VALU_DEP_3)
	v_add_co_u32 v12, vcc_lo, s0, v14
	v_ashrrev_i32_e32 v17, 31, v16
	v_add_co_ci_u32_e32 v13, vcc_lo, s2, v15, vcc_lo
	v_add_co_u32 v14, vcc_lo, v12, 8
	s_delay_alu instid0(VALU_DEP_3) | instskip(NEXT) | instid1(VALU_DEP_3)
	v_lshlrev_b64 v[16:17], 3, v[16:17]
	v_add_co_ci_u32_e32 v15, vcc_lo, 0, v13, vcc_lo
	s_mov_b32 s2, s3
	s_delay_alu instid0(VALU_DEP_2) | instskip(NEXT) | instid1(VALU_DEP_3)
	v_add_co_u32 v16, vcc_lo, s24, v16
	v_add_co_ci_u32_e32 v17, vcc_lo, s25, v17, vcc_lo
	s_branch .LBB18_41
.LBB18_39:                              ;   in Loop: Header=BB18_41 Depth=1
	s_or_b32 exec_lo, exec_lo, s0
.LBB18_40:                              ;   in Loop: Header=BB18_41 Depth=1
	s_delay_alu instid0(SALU_CYCLE_1) | instskip(SKIP_1) | instid1(SALU_CYCLE_1)
	s_or_b32 exec_lo, exec_lo, s11
	s_add_i32 s2, s2, 1
	v_cmp_eq_u32_e32 vcc_lo, s2, v7
	s_or_b32 s10, vcc_lo, s10
	s_delay_alu instid0(SALU_CYCLE_1)
	s_and_not1_b32 exec_lo, exec_lo, s10
	s_cbranch_execz .LBB18_51
.LBB18_41:                              ; =>This Loop Header: Depth=1
                                        ;     Child Loop BB18_43 Depth 2
                                        ;     Child Loop BB18_48 Depth 2
	s_lshl_b64 s[14:15], s[2:3], 3
	v_dual_mov_b32 v25, v11 :: v_dual_mov_b32 v24, v10
	v_add_co_u32 v18, vcc_lo, v32, s14
	v_add_co_ci_u32_e32 v19, vcc_lo, s15, v33, vcc_lo
	s_mov_b32 s11, 0
	s_mov_b32 s17, 0
                                        ; implicit-def: $sgpr14
                                        ; implicit-def: $sgpr16
                                        ; implicit-def: $sgpr15
	global_load_b64 v[18:19], v[18:19], off
	s_set_inst_prefetch_distance 0x1
	s_branch .LBB18_43
	.p2align	6
.LBB18_42:                              ;   in Loop: Header=BB18_43 Depth=2
	s_or_b32 exec_lo, exec_lo, s19
	s_delay_alu instid0(SALU_CYCLE_1)
	s_and_b32 s0, exec_lo, s16
	v_mov_b32_e32 v9, s17
	s_or_b32 s11, s0, s11
	s_and_not1_b32 s0, s14, exec_lo
	s_and_b32 s14, s15, exec_lo
	s_mov_b32 s17, s18
	s_or_b32 s14, s0, s14
	s_and_not1_b32 exec_lo, exec_lo, s11
	s_cbranch_execz .LBB18_45
.LBB18_43:                              ;   Parent Loop BB18_41 Depth=1
                                        ; =>  This Inner Loop Header: Depth=2
	global_load_b64 v[20:21], v[24:25], off
	v_dual_mov_b32 v22, v24 :: v_dual_mov_b32 v23, v25
	s_or_b32 s15, s15, exec_lo
	s_or_b32 s16, s16, exec_lo
	s_mov_b32 s19, exec_lo
                                        ; implicit-def: $sgpr18
                                        ; implicit-def: $vgpr24_vgpr25
	s_waitcnt vmcnt(0)
	v_cmpx_neq_f64_e32 v[18:19], v[20:21]
	s_cbranch_execz .LBB18_42
; %bb.44:                               ;   in Loop: Header=BB18_43 Depth=2
	s_add_i32 s18, s17, 1
	v_add_co_u32 v24, s0, v22, 8
	v_cmp_eq_u32_e32 vcc_lo, s18, v7
	v_add_co_ci_u32_e64 v25, s0, 0, v23, s0
	s_and_not1_b32 s0, s16, exec_lo
	s_and_not1_b32 s15, s15, exec_lo
	s_and_b32 s16, vcc_lo, exec_lo
	s_delay_alu instid0(SALU_CYCLE_1)
	s_or_b32 s16, s0, s16
	s_branch .LBB18_42
.LBB18_45:                              ;   in Loop: Header=BB18_41 Depth=1
	s_set_inst_prefetch_distance 0x2
	s_or_b32 exec_lo, exec_lo, s11
	s_and_saveexec_b32 s0, s14
	s_delay_alu instid0(SALU_CYCLE_1)
	s_xor_b32 s11, exec_lo, s0
	s_cbranch_execz .LBB18_40
; %bb.46:                               ;   in Loop: Header=BB18_41 Depth=1
	v_cmp_eq_u32_e32 vcc_lo, v9, v36
	v_dual_cndmask_b32 v23, v23, v37 :: v_dual_cndmask_b32 v22, v22, v4
	s_and_not1_b32 vcc_lo, exec_lo, s7
	global_load_b64 v[22:23], v[22:23], off offset:8
	global_load_b64 v[24:25], v[12:13], off
	s_waitcnt vmcnt(1)
	v_add_f64 v[20:21], v[22:23], -v[20:21]
	s_delay_alu instid0(VALU_DEP_1) | instskip(SKIP_1) | instid1(VALU_DEP_1)
	v_fma_f64 v[20:21], v[20:21], 0.5, v[18:19]
	s_waitcnt vmcnt(0)
	v_add_f64 v[24:25], v[24:25], -v[20:21]
	s_delay_alu instid0(VALU_DEP_1) | instskip(NEXT) | instid1(VALU_DEP_1)
	v_cmp_le_f64_e64 s0, v[24:25], v[5:6]
	v_cndmask_b32_e64 v9, 0, 1, s0
	s_cbranch_vccnz .LBB18_49
; %bb.47:                               ;   in Loop: Header=BB18_41 Depth=1
	v_cmp_gt_f64_e64 s14, v[24:25], -v[5:6]
	v_dual_mov_b32 v23, v15 :: v_dual_mov_b32 v22, v14
	s_delay_alu instid0(VALU_DEP_2)
	s_and_b32 vcc_lo, s0, s14
	s_mov_b32 s14, s1
	v_dual_cndmask_b32 v27, v25, v38 :: v_dual_cndmask_b32 v26, v24, v5
	v_dual_mov_b32 v25, v17 :: v_dual_mov_b32 v24, v16
	s_set_inst_prefetch_distance 0x1
	.p2align	6
.LBB18_48:                              ;   Parent Loop BB18_41 Depth=1
                                        ; =>  This Inner Loop Header: Depth=2
	global_load_b64 v[39:40], v[24:25], off
	global_load_b64 v[43:44], v[22:23], off
	v_add_co_u32 v24, s0, v24, 8
	s_delay_alu instid0(VALU_DEP_1) | instskip(SKIP_1) | instid1(VALU_DEP_1)
	v_add_co_ci_u32_e64 v25, s0, 0, v25, s0
	v_add_co_u32 v22, s0, v22, 8
	v_add_co_ci_u32_e64 v23, s0, 0, v23, s0
	s_add_i32 s14, s14, -1
	s_waitcnt vmcnt(1)
	v_div_scale_f64 v[41:42], null, v[26:27], v[26:27], v[39:40]
	v_div_scale_f64 v[49:50], vcc_lo, v[39:40], v[26:27], v[39:40]
	s_waitcnt vmcnt(0)
	v_add_f64 v[43:44], v[43:44], -v[20:21]
	s_delay_alu instid0(VALU_DEP_3) | instskip(SKIP_2) | instid1(VALU_DEP_1)
	v_rcp_f64_e32 v[45:46], v[41:42]
	s_waitcnt_depctr 0xfff
	v_fma_f64 v[47:48], -v[41:42], v[45:46], 1.0
	v_fma_f64 v[45:46], v[45:46], v[47:48], v[45:46]
	s_delay_alu instid0(VALU_DEP_1) | instskip(NEXT) | instid1(VALU_DEP_1)
	v_fma_f64 v[47:48], -v[41:42], v[45:46], 1.0
	v_fma_f64 v[45:46], v[45:46], v[47:48], v[45:46]
	s_delay_alu instid0(VALU_DEP_1) | instskip(NEXT) | instid1(VALU_DEP_1)
	v_mul_f64 v[47:48], v[49:50], v[45:46]
	v_fma_f64 v[41:42], -v[41:42], v[47:48], v[49:50]
	s_delay_alu instid0(VALU_DEP_1) | instskip(NEXT) | instid1(VALU_DEP_1)
	v_div_fmas_f64 v[41:42], v[41:42], v[45:46], v[47:48]
	v_div_fixup_f64 v[26:27], v[41:42], v[26:27], v[39:40]
	s_delay_alu instid0(VALU_DEP_1) | instskip(NEXT) | instid1(VALU_DEP_1)
	v_add_f64 v[26:27], v[43:44], -v[26:27]
	v_cmp_le_f64_e32 vcc_lo, v[26:27], v[5:6]
	v_cmp_gt_f64_e64 s15, v[26:27], -v[5:6]
	v_add_co_ci_u32_e64 v9, s0, 0, v9, vcc_lo
	s_delay_alu instid0(VALU_DEP_2)
	s_and_b32 vcc_lo, vcc_lo, s15
	s_cmp_lg_u32 s14, 0
	v_dual_cndmask_b32 v27, v27, v38 :: v_dual_cndmask_b32 v26, v26, v5
	s_cbranch_scc1 .LBB18_48
.LBB18_49:                              ;   in Loop: Header=BB18_41 Depth=1
	s_set_inst_prefetch_distance 0x2
	s_delay_alu instid0(VALU_DEP_1) | instskip(SKIP_1) | instid1(VALU_DEP_1)
	v_cmp_le_i32_e32 vcc_lo, s31, v9
	v_cmp_ge_i32_e64 s0, s33, v9
	s_and_b32 s14, vcc_lo, s0
	s_delay_alu instid0(SALU_CYCLE_1)
	s_and_saveexec_b32 s0, s14
	s_cbranch_execz .LBB18_39
; %bb.50:                               ;   in Loop: Header=BB18_41 Depth=1
	s_lshl_b64 s[14:15], s[2:3], 2
	v_ashrrev_i32_e32 v9, 31, v8
	v_add_co_u32 v20, vcc_lo, v34, s14
	v_add_co_ci_u32_e32 v21, vcc_lo, s15, v35, vcc_lo
	s_delay_alu instid0(VALU_DEP_3) | instskip(SKIP_3) | instid1(VALU_DEP_2)
	v_lshlrev_b64 v[22:23], 2, v[8:9]
	global_load_b32 v24, v[20:21], off
	v_lshlrev_b64 v[20:21], 3, v[8:9]
	v_add_nc_u32_e32 v8, 1, v8
	v_add_co_u32 v20, vcc_lo, v28, v20
	s_delay_alu instid0(VALU_DEP_3)
	v_add_co_ci_u32_e32 v21, vcc_lo, v29, v21, vcc_lo
	v_add_co_u32 v22, vcc_lo, v30, v22
	v_add_co_ci_u32_e32 v23, vcc_lo, v31, v23, vcc_lo
	global_store_b64 v[20:21], v[18:19], off
	s_waitcnt vmcnt(0)
	global_store_b32 v[22:23], v24, off
	s_branch .LBB18_39
.LBB18_51:
	s_or_b32 exec_lo, exec_lo, s10
.LBB18_52:
	s_delay_alu instid0(SALU_CYCLE_1)
	s_or_b32 exec_lo, exec_lo, s6
.LBB18_53:
	v_add_co_u32 v2, vcc_lo, s4, v2
	v_add_co_ci_u32_e32 v3, vcc_lo, s5, v3, vcc_lo
	v_cmp_lt_i32_e32 vcc_lo, 1, v8
	s_cmpk_eq_i32 s29, 0xf2
	s_mov_b32 s2, 1
	s_cselect_b32 s0, -1, 0
	global_store_b32 v[2:3], v8, off
	s_and_b32 s0, s0, vcc_lo
	s_delay_alu instid0(SALU_CYCLE_1)
	s_and_b32 exec_lo, exec_lo, s0
	s_cbranch_execz .LBB18_61
; %bb.54:
	v_add_co_u32 v13, vcc_lo, v28, -8
	v_add_co_ci_u32_e32 v14, vcc_lo, -1, v29, vcc_lo
	v_add_co_u32 v0, vcc_lo, v0, s8
	v_add_co_ci_u32_e32 v1, vcc_lo, s9, v1, vcc_lo
	v_add_co_u32 v15, vcc_lo, v30, -4
	v_add_co_ci_u32_e32 v16, vcc_lo, -1, v31, vcc_lo
	s_delay_alu instid0(VALU_DEP_4) | instskip(NEXT) | instid1(VALU_DEP_4)
	v_add_co_u32 v0, vcc_lo, v0, 8
	v_add_co_ci_u32_e32 v1, vcc_lo, 0, v1, vcc_lo
	s_cmp_lg_u64 s[12:13], 0
	s_mov_b32 s5, 0
	s_cselect_b32 s4, -1, 0
	s_branch .LBB18_56
.LBB18_55:                              ;   in Loop: Header=BB18_56 Depth=1
	s_or_b32 exec_lo, exec_lo, s0
	s_add_i32 s2, s2, 1
	v_add_co_u32 v0, s0, v0, 8
	v_cmp_eq_u32_e32 vcc_lo, s2, v8
	v_add_co_ci_u32_e64 v1, s0, 0, v1, s0
	s_or_b32 s5, vcc_lo, s5
	s_delay_alu instid0(SALU_CYCLE_1)
	s_and_not1_b32 exec_lo, exec_lo, s5
	s_cbranch_execz .LBB18_61
.LBB18_56:                              ; =>This Loop Header: Depth=1
                                        ;     Child Loop BB18_57 Depth 2
	s_ashr_i32 s3, s2, 31
	s_add_i32 s6, s2, -1
	s_lshl_b64 s[0:1], s[2:3], 3
	v_mov_b32_e32 v2, s6
	v_add_co_u32 v4, vcc_lo, v13, s0
	s_waitcnt vmcnt(0)
	v_add_co_ci_u32_e32 v5, vcc_lo, s1, v14, vcc_lo
	s_mov_b32 s7, 0
	s_mov_b32 s8, s2
	global_load_b64 v[6:7], v[4:5], off
	v_dual_mov_b32 v12, v1 :: v_dual_mov_b32 v11, v0
	s_waitcnt vmcnt(0)
	v_dual_mov_b32 v10, v7 :: v_dual_mov_b32 v9, v6
	.p2align	6
.LBB18_57:                              ;   Parent Loop BB18_56 Depth=1
                                        ; =>  This Inner Loop Header: Depth=2
	global_load_b64 v[17:18], v[11:12], off
	v_add_co_u32 v11, s0, v11, 8
	s_delay_alu instid0(VALU_DEP_1)
	v_add_co_ci_u32_e64 v12, s0, 0, v12, s0
	s_waitcnt vmcnt(0)
	v_cmp_lt_f64_e32 vcc_lo, v[17:18], v[9:10]
	v_cndmask_b32_e64 v2, v2, s8, vcc_lo
	s_add_i32 s8, s8, 1
	v_dual_cndmask_b32 v10, v10, v18 :: v_dual_cndmask_b32 v9, v9, v17
	v_cmp_ge_i32_e64 s1, s8, v8
	s_delay_alu instid0(VALU_DEP_1) | instskip(NEXT) | instid1(SALU_CYCLE_1)
	s_or_b32 s7, s1, s7
	s_and_not1_b32 exec_lo, exec_lo, s7
	s_cbranch_execnz .LBB18_57
; %bb.58:                               ;   in Loop: Header=BB18_56 Depth=1
	s_or_b32 exec_lo, exec_lo, s7
	s_delay_alu instid0(SALU_CYCLE_1)
	s_mov_b32 s0, exec_lo
	v_cmpx_ne_u32_e64 s6, v2
	s_cbranch_execz .LBB18_55
; %bb.59:                               ;   in Loop: Header=BB18_56 Depth=1
	v_ashrrev_i32_e32 v3, 31, v2
	s_delay_alu instid0(VALU_DEP_1) | instskip(NEXT) | instid1(VALU_DEP_1)
	v_lshlrev_b64 v[11:12], 3, v[2:3]
	v_add_co_u32 v11, vcc_lo, v28, v11
	s_delay_alu instid0(VALU_DEP_2)
	v_add_co_ci_u32_e32 v12, vcc_lo, v29, v12, vcc_lo
	s_and_not1_b32 vcc_lo, exec_lo, s4
	s_clause 0x1
	global_store_b64 v[11:12], v[6:7], off
	global_store_b64 v[4:5], v[9:10], off
	s_cbranch_vccnz .LBB18_55
; %bb.60:                               ;   in Loop: Header=BB18_56 Depth=1
	v_lshlrev_b64 v[2:3], 2, v[2:3]
	s_lshl_b64 s[6:7], s[2:3], 2
	s_delay_alu instid0(SALU_CYCLE_1) | instskip(SKIP_1) | instid1(VALU_DEP_3)
	v_add_co_u32 v4, vcc_lo, v15, s6
	v_add_co_ci_u32_e32 v5, vcc_lo, s7, v16, vcc_lo
	v_add_co_u32 v2, vcc_lo, v30, v2
	s_delay_alu instid0(VALU_DEP_4)
	v_add_co_ci_u32_e32 v3, vcc_lo, v31, v3, vcc_lo
	s_clause 0x1
	global_load_b32 v6, v[4:5], off
	global_load_b32 v7, v[2:3], off
	s_waitcnt vmcnt(1)
	global_store_b32 v[2:3], v6, off
	s_waitcnt vmcnt(0)
	global_store_b32 v[4:5], v7, off
	s_branch .LBB18_55
.LBB18_61:
	s_nop 0
	s_sendmsg sendmsg(MSG_DEALLOC_VGPRS)
	s_endpgm
	.section	.rodata,"a",@progbits
	.p2align	6, 0x0
	.amdhsa_kernel _ZN9rocsolver6v33100L22stebz_synthesis_kernelIdPdEEv15rocblas_erange_15rocblas_eorder_iiiT0_iiPiS6_PT_lS6_lS6_liS6_S8_S8_S8_S8_S6_S7_
		.amdhsa_group_segment_fixed_size 0
		.amdhsa_private_segment_fixed_size 0
		.amdhsa_kernarg_size 424
		.amdhsa_user_sgpr_count 15
		.amdhsa_user_sgpr_dispatch_ptr 0
		.amdhsa_user_sgpr_queue_ptr 0
		.amdhsa_user_sgpr_kernarg_segment_ptr 1
		.amdhsa_user_sgpr_dispatch_id 0
		.amdhsa_user_sgpr_private_segment_size 0
		.amdhsa_wavefront_size32 1
		.amdhsa_uses_dynamic_stack 0
		.amdhsa_enable_private_segment 0
		.amdhsa_system_sgpr_workgroup_id_x 1
		.amdhsa_system_sgpr_workgroup_id_y 0
		.amdhsa_system_sgpr_workgroup_id_z 0
		.amdhsa_system_sgpr_workgroup_info 0
		.amdhsa_system_vgpr_workitem_id 0
		.amdhsa_next_free_vgpr 51
		.amdhsa_next_free_sgpr 34
		.amdhsa_reserve_vcc 1
		.amdhsa_float_round_mode_32 0
		.amdhsa_float_round_mode_16_64 0
		.amdhsa_float_denorm_mode_32 3
		.amdhsa_float_denorm_mode_16_64 3
		.amdhsa_dx10_clamp 1
		.amdhsa_ieee_mode 1
		.amdhsa_fp16_overflow 0
		.amdhsa_workgroup_processor_mode 1
		.amdhsa_memory_ordered 1
		.amdhsa_forward_progress 0
		.amdhsa_shared_vgpr_count 0
		.amdhsa_exception_fp_ieee_invalid_op 0
		.amdhsa_exception_fp_denorm_src 0
		.amdhsa_exception_fp_ieee_div_zero 0
		.amdhsa_exception_fp_ieee_overflow 0
		.amdhsa_exception_fp_ieee_underflow 0
		.amdhsa_exception_fp_ieee_inexact 0
		.amdhsa_exception_int_div_zero 0
	.end_amdhsa_kernel
	.section	.text._ZN9rocsolver6v33100L22stebz_synthesis_kernelIdPdEEv15rocblas_erange_15rocblas_eorder_iiiT0_iiPiS6_PT_lS6_lS6_liS6_S8_S8_S8_S8_S6_S7_,"axG",@progbits,_ZN9rocsolver6v33100L22stebz_synthesis_kernelIdPdEEv15rocblas_erange_15rocblas_eorder_iiiT0_iiPiS6_PT_lS6_lS6_liS6_S8_S8_S8_S8_S6_S7_,comdat
.Lfunc_end18:
	.size	_ZN9rocsolver6v33100L22stebz_synthesis_kernelIdPdEEv15rocblas_erange_15rocblas_eorder_iiiT0_iiPiS6_PT_lS6_lS6_liS6_S8_S8_S8_S8_S6_S7_, .Lfunc_end18-_ZN9rocsolver6v33100L22stebz_synthesis_kernelIdPdEEv15rocblas_erange_15rocblas_eorder_iiiT0_iiPiS6_PT_lS6_lS6_liS6_S8_S8_S8_S8_S6_S7_
                                        ; -- End function
	.section	.AMDGPU.csdata,"",@progbits
; Kernel info:
; codeLenInByte = 3468
; NumSgprs: 36
; NumVgprs: 51
; ScratchSize: 0
; MemoryBound: 0
; FloatMode: 240
; IeeeMode: 1
; LDSByteSize: 0 bytes/workgroup (compile time only)
; SGPRBlocks: 4
; VGPRBlocks: 6
; NumSGPRsForWavesPerEU: 36
; NumVGPRsForWavesPerEU: 51
; Occupancy: 16
; WaveLimiterHint : 1
; COMPUTE_PGM_RSRC2:SCRATCH_EN: 0
; COMPUTE_PGM_RSRC2:USER_SGPR: 15
; COMPUTE_PGM_RSRC2:TRAP_HANDLER: 0
; COMPUTE_PGM_RSRC2:TGID_X_EN: 1
; COMPUTE_PGM_RSRC2:TGID_Y_EN: 0
; COMPUTE_PGM_RSRC2:TGID_Z_EN: 0
; COMPUTE_PGM_RSRC2:TIDIG_COMP_CNT: 0
	.section	.text._ZN9rocsolver6v33100L15bdsvdx_abs_eigsIdEEviPiPT_lS4_,"axG",@progbits,_ZN9rocsolver6v33100L15bdsvdx_abs_eigsIdEEviPiPT_lS4_,comdat
	.globl	_ZN9rocsolver6v33100L15bdsvdx_abs_eigsIdEEviPiPT_lS4_ ; -- Begin function _ZN9rocsolver6v33100L15bdsvdx_abs_eigsIdEEviPiPT_lS4_
	.p2align	8
	.type	_ZN9rocsolver6v33100L15bdsvdx_abs_eigsIdEEviPiPT_lS4_,@function
_ZN9rocsolver6v33100L15bdsvdx_abs_eigsIdEEviPiPT_lS4_: ; @_ZN9rocsolver6v33100L15bdsvdx_abs_eigsIdEEviPiPT_lS4_
; %bb.0:
	s_load_b256 s[4:11], s[0:1], 0x8
	s_mov_b32 s2, s15
	s_ashr_i32 s3, s15, 31
	s_delay_alu instid0(SALU_CYCLE_1)
	s_lshl_b64 s[12:13], s[2:3], 2
	s_waitcnt lgkmcnt(0)
	s_add_u32 s4, s4, s12
	s_addc_u32 s5, s5, s13
	s_load_b32 s12, s[0:1], 0x0
	s_load_b32 s13, s[4:5], 0x0
	s_load_b32 s0, s[0:1], 0x34
	s_waitcnt lgkmcnt(0)
	s_cmp_le_i32 s13, s12
	s_cbranch_scc1 .LBB19_2
; %bb.1:
	v_dual_mov_b32 v1, 0 :: v_dual_mov_b32 v2, s12
	s_mov_b32 s13, s12
	global_store_b32 v1, v2, s[4:5]
.LBB19_2:
	s_and_b32 s0, 0xffff, s0
	s_delay_alu instid0(SALU_CYCLE_1) | instskip(SKIP_1) | instid1(VALU_DEP_1)
	v_mad_u64_u32 v[1:2], null, s14, s0, v[0:1]
	s_mov_b32 s0, exec_lo
	v_cmpx_gt_i32_e64 s13, v1
	s_cbranch_execz .LBB19_4
; %bb.3:
	s_mul_i32 s0, s2, s9
	s_mul_hi_u32 s1, s2, s8
	s_mul_i32 s3, s3, s8
	s_add_i32 s1, s1, s0
	s_mul_i32 s0, s2, s8
	s_add_i32 s1, s1, s3
	v_ashrrev_i32_e32 v2, 31, v1
	s_lshl_b64 s[0:1], s[0:1], 3
	s_mul_i32 s2, s2, s12
	s_add_u32 s3, s6, s0
	s_addc_u32 s4, s7, s1
	s_lshl_b32 s0, s2, 1
	v_lshlrev_b64 v[0:1], 3, v[1:2]
	s_ashr_i32 s1, s0, 31
	s_delay_alu instid0(SALU_CYCLE_1) | instskip(NEXT) | instid1(SALU_CYCLE_1)
	s_lshl_b64 s[0:1], s[0:1], 3
	s_add_u32 s0, s10, s0
	s_addc_u32 s1, s11, s1
	s_delay_alu instid0(VALU_DEP_1)
	v_add_co_u32 v2, vcc_lo, s0, v0
	v_add_co_ci_u32_e32 v3, vcc_lo, s1, v1, vcc_lo
	v_add_co_u32 v0, vcc_lo, s3, v0
	v_add_co_ci_u32_e32 v1, vcc_lo, s4, v1, vcc_lo
	global_load_b64 v[2:3], v[2:3], off
	s_waitcnt vmcnt(0)
	v_xor_b32_e32 v3, 0x80000000, v3
	global_store_b64 v[0:1], v[2:3], off
.LBB19_4:
	s_nop 0
	s_sendmsg sendmsg(MSG_DEALLOC_VGPRS)
	s_endpgm
	.section	.rodata,"a",@progbits
	.p2align	6, 0x0
	.amdhsa_kernel _ZN9rocsolver6v33100L15bdsvdx_abs_eigsIdEEviPiPT_lS4_
		.amdhsa_group_segment_fixed_size 0
		.amdhsa_private_segment_fixed_size 0
		.amdhsa_kernarg_size 296
		.amdhsa_user_sgpr_count 14
		.amdhsa_user_sgpr_dispatch_ptr 0
		.amdhsa_user_sgpr_queue_ptr 0
		.amdhsa_user_sgpr_kernarg_segment_ptr 1
		.amdhsa_user_sgpr_dispatch_id 0
		.amdhsa_user_sgpr_private_segment_size 0
		.amdhsa_wavefront_size32 1
		.amdhsa_uses_dynamic_stack 0
		.amdhsa_enable_private_segment 0
		.amdhsa_system_sgpr_workgroup_id_x 1
		.amdhsa_system_sgpr_workgroup_id_y 1
		.amdhsa_system_sgpr_workgroup_id_z 0
		.amdhsa_system_sgpr_workgroup_info 0
		.amdhsa_system_vgpr_workitem_id 0
		.amdhsa_next_free_vgpr 4
		.amdhsa_next_free_sgpr 16
		.amdhsa_reserve_vcc 1
		.amdhsa_float_round_mode_32 0
		.amdhsa_float_round_mode_16_64 0
		.amdhsa_float_denorm_mode_32 3
		.amdhsa_float_denorm_mode_16_64 3
		.amdhsa_dx10_clamp 1
		.amdhsa_ieee_mode 1
		.amdhsa_fp16_overflow 0
		.amdhsa_workgroup_processor_mode 1
		.amdhsa_memory_ordered 1
		.amdhsa_forward_progress 0
		.amdhsa_shared_vgpr_count 0
		.amdhsa_exception_fp_ieee_invalid_op 0
		.amdhsa_exception_fp_denorm_src 0
		.amdhsa_exception_fp_ieee_div_zero 0
		.amdhsa_exception_fp_ieee_overflow 0
		.amdhsa_exception_fp_ieee_underflow 0
		.amdhsa_exception_fp_ieee_inexact 0
		.amdhsa_exception_int_div_zero 0
	.end_amdhsa_kernel
	.section	.text._ZN9rocsolver6v33100L15bdsvdx_abs_eigsIdEEviPiPT_lS4_,"axG",@progbits,_ZN9rocsolver6v33100L15bdsvdx_abs_eigsIdEEviPiPT_lS4_,comdat
.Lfunc_end19:
	.size	_ZN9rocsolver6v33100L15bdsvdx_abs_eigsIdEEviPiPT_lS4_, .Lfunc_end19-_ZN9rocsolver6v33100L15bdsvdx_abs_eigsIdEEviPiPT_lS4_
                                        ; -- End function
	.section	.AMDGPU.csdata,"",@progbits
; Kernel info:
; codeLenInByte = 272
; NumSgprs: 18
; NumVgprs: 4
; ScratchSize: 0
; MemoryBound: 0
; FloatMode: 240
; IeeeMode: 1
; LDSByteSize: 0 bytes/workgroup (compile time only)
; SGPRBlocks: 2
; VGPRBlocks: 0
; NumSGPRsForWavesPerEU: 18
; NumVGPRsForWavesPerEU: 4
; Occupancy: 16
; WaveLimiterHint : 0
; COMPUTE_PGM_RSRC2:SCRATCH_EN: 0
; COMPUTE_PGM_RSRC2:USER_SGPR: 14
; COMPUTE_PGM_RSRC2:TRAP_HANDLER: 0
; COMPUTE_PGM_RSRC2:TGID_X_EN: 1
; COMPUTE_PGM_RSRC2:TGID_Y_EN: 1
; COMPUTE_PGM_RSRC2:TGID_Z_EN: 0
; COMPUTE_PGM_RSRC2:TIDIG_COMP_CNT: 0
	.section	.text._ZN9rocsolver6v33100L12stein_kernelIddPdEEviPT0_lS4_lPiS4_lS5_lS5_lT1_iilS5_lS5_S4_S5_S3_S3_,"axG",@progbits,_ZN9rocsolver6v33100L12stein_kernelIddPdEEviPT0_lS4_lPiS4_lS5_lS5_lT1_iilS5_lS5_S4_S5_S3_S3_,comdat
	.globl	_ZN9rocsolver6v33100L12stein_kernelIddPdEEviPT0_lS4_lPiS4_lS5_lS5_lT1_iilS5_lS5_S4_S5_S3_S3_ ; -- Begin function _ZN9rocsolver6v33100L12stein_kernelIddPdEEviPT0_lS4_lPiS4_lS5_lS5_lT1_iilS5_lS5_S4_S5_S3_S3_
	.p2align	8
	.type	_ZN9rocsolver6v33100L12stein_kernelIddPdEEviPT0_lS4_lPiS4_lS5_lS5_lT1_iilS5_lS5_S4_S5_S3_S3_,@function
_ZN9rocsolver6v33100L12stein_kernelIddPdEEviPT0_lS4_lPiS4_lS5_lS5_lT1_iilS5_lS5_S4_S5_S3_S3_: ; @_ZN9rocsolver6v33100L12stein_kernelIddPdEEviPT0_lS4_lPiS4_lS5_lS5_lT1_iilS5_lS5_S4_S5_S3_S3_
; %bb.0:
	s_load_b512 s[36:51], s[0:1], 0x8
	s_mov_b32 s52, s15
	s_ashr_i32 s53, s15, 31
	s_delay_alu instid0(SALU_CYCLE_1)
	s_lshl_b64 s[4:5], s[52:53], 2
	s_waitcnt lgkmcnt(0)
	s_add_u32 s2, s44, s4
	s_addc_u32 s3, s45, s5
	s_load_b32 s30, s[2:3], 0x0
	s_waitcnt lgkmcnt(0)
	s_cmp_lt_i32 s30, 1
	s_cbranch_scc1 .LBB20_258
; %bb.1:
                                        ; implicit-def: $vgpr61 : SGPR spill to VGPR lane
	s_mov_b64 s[34:35], 0
	v_writelane_b32 v61, s4, 0
	v_writelane_b32 v61, s5, 1
	s_load_b512 s[4:19], s[0:1], 0x70
	s_waitcnt lgkmcnt(0)
	s_cmp_eq_u64 s[6:7], 0
	s_cbranch_scc1 .LBB20_3
; %bb.2:
	s_mul_i32 s2, s52, s9
	s_mul_hi_u32 s3, s52, s8
	s_mul_i32 s9, s53, s8
	s_add_i32 s2, s3, s2
	s_delay_alu instid0(SALU_CYCLE_1) | instskip(SKIP_1) | instid1(SALU_CYCLE_1)
	s_add_i32 s3, s2, s9
	s_mul_i32 s2, s52, s8
	s_lshl_b64 s[2:3], s[2:3], 2
	s_delay_alu instid0(SALU_CYCLE_1)
	s_add_u32 s34, s6, s2
	s_addc_u32 s35, s7, s3
.LBB20_3:
	v_cmp_eq_u32_e64 s2, 0, v0
	s_delay_alu instid0(VALU_DEP_1)
	s_and_saveexec_b32 s3, s2
	s_cbranch_execz .LBB20_5
; %bb.4:
	v_mov_b32_e32 v1, 0
	ds_store_b32 v1, v1
.LBB20_5:
	s_or_b32 exec_lo, exec_lo, s3
	v_cmp_gt_u32_e32 vcc_lo, s30, v0
	s_cmp_lg_u64 s[34:35], 0
	v_lshlrev_b32_e32 v47, 2, v0
	s_cselect_b32 s8, -1, 0
	s_delay_alu instid0(SALU_CYCLE_1) | instskip(NEXT) | instid1(SALU_CYCLE_1)
	s_and_b32 s3, vcc_lo, s8
	s_and_saveexec_b32 s6, s3
	s_cbranch_execz .LBB20_8
; %bb.6:
	v_add_co_u32 v1, s3, s34, v47
	v_dual_mov_b32 v3, 0 :: v_dual_mov_b32 v4, v0
	v_add_co_ci_u32_e64 v2, null, s35, 0, s3
	s_mov_b32 s7, 0
.LBB20_7:                               ; =>This Inner Loop Header: Depth=1
	s_delay_alu instid0(VALU_DEP_2) | instskip(SKIP_2) | instid1(VALU_DEP_1)
	v_add_nc_u32_e32 v4, 0x100, v4
	flat_store_b32 v[1:2], v3
	v_add_co_u32 v1, s3, 0x400, v1
	v_add_co_ci_u32_e64 v2, s3, 0, v2, s3
	v_cmp_le_i32_e32 vcc_lo, s30, v4
	s_or_b32 s7, vcc_lo, s7
	s_delay_alu instid0(SALU_CYCLE_1)
	s_and_not1_b32 exec_lo, exec_lo, s7
	s_cbranch_execnz .LBB20_7
.LBB20_8:
	s_or_b32 exec_lo, exec_lo, s6
	s_load_b256 s[20:27], s[0:1], 0x48
	s_mov_b32 s9, 0
	v_mov_b32_e32 v5, 0
	s_mov_b32 s31, s9
	s_waitcnt lgkmcnt(0)
	s_mul_i32 s3, s52, s21
	s_mul_hi_u32 s6, s52, s20
	s_mul_i32 s7, s53, s20
	s_add_i32 s3, s6, s3
	s_mul_i32 s6, s52, s20
	s_add_i32 s7, s3, s7
	s_delay_alu instid0(SALU_CYCLE_1) | instskip(NEXT) | instid1(SALU_CYCLE_1)
	s_lshl_b64 s[6:7], s[6:7], 2
	s_add_u32 s33, s50, s6
	s_addc_u32 s100, s51, s7
	s_lshl_b64 s[6:7], s[30:31], 2
	s_delay_alu instid0(SALU_CYCLE_1)
	s_add_u32 s6, s33, s6
	s_addc_u32 s7, s100, s7
	v_writelane_b32 v61, s6, 2
	global_load_b32 v3, v5, s[6:7] offset:-4
	v_writelane_b32 v61, s7, 3
	s_waitcnt vmcnt(0)
	v_cmp_gt_i32_e32 vcc_lo, 1, v3
	s_cbranch_vccnz .LBB20_256
; %bb.9:
	v_div_scale_f64 v[1:2], null, s[18:19], s[18:19], 1.0
	v_div_scale_f64 v[10:11], vcc_lo, 1.0, s[18:19], 1.0
	s_mul_hi_u32 s7, s52, s38
	s_mul_i32 s21, s53, s38
	s_mul_i32 s6, s52, s38
	s_load_b32 s38, s[0:1], 0x0
	s_mul_i32 s3, s52, s39
	s_mul_i32 s29, s52, s43
	s_add_i32 s3, s7, s3
	s_mul_hi_u32 s43, s52, s42
	s_add_i32 s7, s3, s21
	s_mul_i32 s44, s53, s42
	s_lshl_b64 s[6:7], s[6:7], 3
	s_mul_i32 s20, s52, s42
	s_mul_i32 s45, s52, s49
	s_mul_hi_u32 s49, s52, s48
	s_mul_i32 s50, s53, s48
	s_mul_i32 s28, s52, s48
	;; [unrolled: 1-line block ×3, first 2 shown]
	s_mul_hi_u32 s51, s52, s24
	s_mul_i32 s54, s53, s24
	s_mul_i32 s42, s52, s24
	s_load_b64 s[24:25], s[0:1], 0x68
	s_mul_i32 s5, s52, s5
	s_mul_hi_u32 s55, s52, s4
	s_waitcnt lgkmcnt(0)
	s_ashr_i32 s39, s38, 31
	s_add_u32 s31, s36, s6
	s_addc_u32 s101, s37, s7
	s_add_i32 s6, s43, s29
	s_mul_i32 s53, s53, s4
	s_add_i32 s21, s6, s44
	s_mul_i32 s44, s38, 5
	s_lshl_b64 s[6:7], s[20:21], 3
	s_mul_hi_i32 s21, s38, s52
	s_add_u32 s102, s40, s6
	s_addc_u32 s103, s41, s7
	s_delay_alu instid0(VALU_DEP_2)
	v_rcp_f64_e32 v[6:7], v[1:2]
	s_add_i32 s6, s49, s45
	s_mul_i32 s20, s38, s52
	s_add_i32 s29, s6, s50
	s_mul_i32 s4, s52, s4
	s_lshl_b64 s[6:7], s[28:29], 3
	s_mov_b32 s28, s24
	s_add_u32 s104, s46, s6
	s_addc_u32 vcc_hi, s47, s7
	s_add_i32 s6, s51, s48
	s_mul_hi_i32 s7, s44, s52
	s_add_i32 s43, s6, s54
	s_mul_i32 s6, s44, s52
	s_lshl_b64 s[36:37], s[42:43], 2
	s_mul_i32 s50, s38, 3
	s_add_u32 s73, s22, s36
	s_addc_u32 s54, s23, s37
	s_lshl_b64 s[48:49], s[6:7], 3
	v_dual_mov_b32 v51, 1 :: v_dual_lshlrev_b32 v4, 3, v0
	s_add_u32 s22, s12, s48
	s_addc_u32 s23, s13, s49
	s_lshl_b64 s[20:21], s[20:21], 2
	s_mul_i32 s37, s38, 0xffffffe8
	s_add_u32 s14, s14, s20
	s_addc_u32 s15, s15, s21
	s_add_i32 s5, s55, s5
	s_ashr_i32 s29, s24, 31
	s_add_i32 s5, s5, s53
	s_mul_hi_i32 s36, s38, 0xffffffe8
	s_lshl_b64 s[4:5], s[4:5], 3
	v_dual_mov_b32 v52, 0x3ff00000 :: v_dual_add_nc_u32 v49, 8, v4
	s_add_u32 s24, s26, s4
	s_addc_u32 s5, s27, s5
	s_lshl_b64 s[20:21], s[28:29], 3
	v_cmp_gt_u32_e64 s0, 0x80, v0
	s_add_u32 s24, s24, s20
	s_addc_u32 s60, s5, s21
	s_ashr_i32 s51, s50, 31
	s_waitcnt_depctr 0xfff
	v_fma_f64 v[8:9], -v[1:2], v[6:7], 1.0
	s_lshl_b64 s[20:21], s[50:51], 3
	v_add3_u32 v48, 8, 0x1000, v47
	s_add_u32 s26, s22, s20
	s_addc_u32 s27, s23, s21
	s_lshl_b64 s[28:29], s[38:39], 4
	v_cmp_gt_u32_e64 s1, 64, v0
	s_sub_u32 s40, s26, s28
	s_subb_u32 s41, s27, s29
	s_lshl_b64 s[52:53], s[38:39], 3
	v_cmp_gt_u32_e64 s3, 32, v0
	s_add_u32 s42, s40, s52
	s_addc_u32 s43, s41, s53
	s_add_u32 s44, s42, s28
	s_addc_u32 s45, s43, s29
	v_sub_nc_u32_e32 v50, v49, v47
	v_cmp_gt_i32_e64 s4, s38, v0
	s_mov_b32 s64, 0xff800000
	s_mov_b32 s65, 0x41dfffff
	;; [unrolled: 1-line block ×3, first 2 shown]
                                        ; implicit-def: $vgpr21_vgpr22
                                        ; implicit-def: $vgpr23_vgpr24
                                        ; implicit-def: $sgpr63
                                        ; implicit-def: $vgpr19_vgpr20
	v_mov_b32_e32 v53, 8
	v_fma_f64 v[6:7], v[6:7], v[8:9], v[6:7]
	s_delay_alu instid0(VALU_DEP_1) | instskip(NEXT) | instid1(VALU_DEP_1)
	v_fma_f64 v[8:9], -v[1:2], v[6:7], 1.0
	v_fma_f64 v[12:13], v[6:7], v[8:9], v[6:7]
	v_add_nc_u32_e32 v8, s38, v0
	v_max_f64 v[6:7], s[16:17], s[16:17]
	s_delay_alu instid0(VALU_DEP_2) | instskip(NEXT) | instid1(VALU_DEP_1)
	v_ashrrev_i32_e32 v9, 31, v8
	v_lshlrev_b64 v[16:17], 3, v[8:9]
	v_add_co_u32 v9, s5, s22, v4
	v_mul_f64 v[14:15], v[10:11], v[12:13]
	v_max_f64 v[7:8], v[6:7], 0
	s_delay_alu instid0(VALU_DEP_2)
	v_fma_f64 v[1:2], -v[1:2], v[14:15], v[10:11]
	v_add_co_ci_u32_e64 v10, null, s23, 0, s5
	s_add_u32 s5, s44, s37
	s_addc_u32 s36, s45, s36
	s_add_u32 s46, s5, 8
	s_addc_u32 s47, s36, 0
	s_and_b32 s61, s2, s8
	s_add_u32 s5, s73, -4
	s_delay_alu instid0(SALU_CYCLE_1)
	v_writelane_b32 v61, s5, 4
	s_addc_u32 s5, s54, -1
	s_add_u32 s78, s31, -8
	s_addc_u32 s79, s101, -1
	v_writelane_b32 v61, s54, 5
	v_writelane_b32 v61, s5, 6
	s_add_u32 s5, s102, -16
	s_delay_alu instid0(SALU_CYCLE_1)
	v_writelane_b32 v61, s5, 7
	s_addc_u32 s5, s103, -1
	s_add_u32 s36, s22, -8
	s_addc_u32 s37, s23, -1
	v_writelane_b32 v61, s5, 8
	s_add_u32 s5, s102, 8
	s_delay_alu instid0(SALU_CYCLE_1)
	v_writelane_b32 v61, s5, 9
	s_addc_u32 s5, s103, 0
	v_div_fmas_f64 v[1:2], v[1:2], v[12:13], v[14:15]
	v_add_co_u32 v6, vcc_lo, s22, v16
	v_writelane_b32 v61, s5, 10
	s_add_u32 s5, s31, 8
	v_add_co_ci_u32_e32 v16, vcc_lo, s23, v17, vcc_lo
	s_delay_alu instid0(VALU_DEP_3) | instskip(SKIP_2) | instid1(VALU_DEP_3)
	v_add_co_u32 v15, vcc_lo, v6, 8
	v_writelane_b32 v61, s5, 11
	s_addc_u32 s5, s101, 0
	v_add_co_ci_u32_e32 v16, vcc_lo, 0, v16, vcc_lo
                                        ; implicit-def: $vgpr17_vgpr18
	v_writelane_b32 v61, s5, 12
	s_add_u32 s5, s48, s20
	s_addc_u32 s8, s49, s21
	s_add_u32 s56, s5, s12
	s_addc_u32 s57, s8, s13
	s_lshl_b32 s62, s38, 1
	s_sub_u32 s48, s5, s28
	s_subb_u32 s49, s8, s29
	s_add_u32 s6, s6, s50
	v_writelane_b32 v61, s50, 13
	v_add_co_u32 v11, s20, s56, v4
	s_addc_u32 s7, s7, s51
	v_add_co_ci_u32_e64 v12, null, s57, 0, s20
	s_add_u32 s20, s6, s38
	s_addc_u32 s21, s7, s39
	v_writelane_b32 v61, s51, 14
	s_lshl_b64 s[6:7], s[6:7], 3
	s_lshl_b64 s[50:51], s[20:21], 3
	s_sub_u32 s52, s6, s52
	s_subb_u32 s53, s7, s53
	s_add_u32 s54, s5, 8
	s_addc_u32 s55, s8, 0
	v_div_fixup_f64 v[13:14], v[1:2], s[18:19], 1.0
	v_writelane_b32 v61, s73, 15
	s_add_u32 s56, s56, 16
	s_addc_u32 s57, s57, 0
	s_sub_u32 s5, s6, s28
	s_subb_u32 s6, s7, s29
	s_add_u32 s5, s5, s12
	v_writelane_b32 v61, s78, 16
	s_addc_u32 s6, s6, s13
	s_add_u32 s58, s5, 16
	s_addc_u32 s59, s6, 0
	s_mov_b32 s39, 0
	v_writelane_b32 v61, s79, 17
	s_branch .LBB20_12
.LBB20_10:                              ;   in Loop: Header=BB20_12 Depth=1
	v_readlane_b32 s20, v61, 2
	v_readlane_b32 s21, v61, 3
	;; [unrolled: 1-line block ×5, first 2 shown]
	s_mov_b32 s39, s7
	global_load_b32 v3, v5, s[20:21] offset:-4
.LBB20_11:                              ;   in Loop: Header=BB20_12 Depth=1
	s_add_i32 s66, s66, 1
	s_waitcnt vmcnt(0)
	v_cmp_ge_i32_e32 vcc_lo, s66, v3
	s_cbranch_vccnz .LBB20_256
.LBB20_12:                              ; =>This Loop Header: Depth=1
                                        ;     Child Loop BB20_17 Depth 2
                                        ;     Child Loop BB20_22 Depth 2
                                        ;       Child Loop BB20_35 Depth 3
                                        ;       Child Loop BB20_38 Depth 3
	;; [unrolled: 1-line block ×4, first 2 shown]
                                        ;         Child Loop BB20_71 Depth 4
                                        ;         Child Loop BB20_110 Depth 4
	;; [unrolled: 1-line block ×5, first 2 shown]
                                        ;           Child Loop BB20_130 Depth 5
                                        ;         Child Loop BB20_143 Depth 4
                                        ;           Child Loop BB20_144 Depth 5
                                        ;           Child Loop BB20_146 Depth 5
                                        ;         Child Loop BB20_151 Depth 4
                                        ;       Child Loop BB20_194 Depth 3
                                        ;       Child Loop BB20_233 Depth 3
	;; [unrolled: 1-line block ×4, first 2 shown]
	s_mov_b32 s68, 0
	s_cmp_eq_u32 s66, 0
	s_mov_b64 s[6:7], 0
	s_cbranch_scc1 .LBB20_14
; %bb.13:                               ;   in Loop: Header=BB20_12 Depth=1
	v_readlane_b32 s5, v61, 4
	s_mov_b32 s67, s9
	s_delay_alu instid0(SALU_CYCLE_1)
	s_lshl_b64 s[6:7], s[66:67], 2
	s_delay_alu instid0(VALU_DEP_1) | instid1(SALU_CYCLE_1)
	s_add_u32 s6, s5, s6
	v_readlane_b32 s5, v61, 6
	s_delay_alu instid0(VALU_DEP_1)
	s_addc_u32 s7, s5, s7
	global_load_b32 v1, v5, s[6:7]
	s_mov_b64 s[6:7], s[66:67]
	s_waitcnt vmcnt(0)
	v_readfirstlane_b32 s68, v1
.LBB20_14:                              ;   in Loop: Header=BB20_12 Depth=1
	v_readlane_b32 s5, v61, 5
	s_lshl_b64 s[6:7], s[6:7], 2
	s_delay_alu instid0(SALU_CYCLE_1) | instskip(NEXT) | instid1(VALU_DEP_1)
	s_add_u32 s6, s73, s6
	s_addc_u32 s7, s5, s7
	s_not_b32 s5, s68
	global_load_b32 v1, v5, s[6:7]
	s_waitcnt vmcnt(0)
	v_readfirstlane_b32 s70, v1
	v_subrev_nc_u32_e32 v54, s68, v1
	s_delay_alu instid0(VALU_DEP_2) | instskip(NEXT) | instid1(SALU_CYCLE_1)
	s_add_i32 s72, s5, s70
	s_cmp_lt_i32 s72, 1
	s_cselect_b32 s67, -1, 0
	s_delay_alu instid0(SALU_CYCLE_1)
	s_and_b32 vcc_lo, exec_lo, s67
	s_cbranch_vccnz .LBB20_19
; %bb.15:                               ;   in Loop: Header=BB20_12 Depth=1
	s_ashr_i32 s69, s68, 31
	v_readlane_b32 s8, v61, 7
	s_lshl_b64 s[74:75], s[68:69], 3
	s_delay_alu instid0(SALU_CYCLE_1) | instskip(SKIP_4) | instid1(SALU_CYCLE_1)
	s_add_u32 s6, s31, s74
	s_addc_u32 s7, s101, s75
	s_add_u32 s20, s102, s74
	s_addc_u32 s21, s103, s75
	s_ashr_i32 s71, s70, 31
	s_lshl_b64 s[28:29], s[70:71], 3
	s_delay_alu instid0(SALU_CYCLE_1) | instskip(SKIP_4) | instid1(VALU_DEP_1)
	s_add_u32 s76, s78, s28
	s_addc_u32 s77, s79, s29
	s_add_i32 s5, s70, -2
	s_add_u32 s28, s8, s28
	v_readlane_b32 s8, v61, 8
	s_addc_u32 s29, s8, s29
	s_clause 0x3
	global_load_b64 v[19:20], v5, s[6:7]
	global_load_b64 v[1:2], v5, s[20:21]
	;; [unrolled: 1-line block ×4, first 2 shown]
	s_cmp_ge_i32 s68, s5
	s_waitcnt vmcnt(2)
	v_add_f64 v[19:20], |v[19:20]|, |v[1:2]|
	s_waitcnt vmcnt(0)
	v_add_f64 v[21:22], |v[21:22]|, |v[23:24]|
	s_delay_alu instid0(VALU_DEP_1)
	v_cmp_lt_f64_e32 vcc_lo, v[19:20], v[21:22]
	v_dual_cndmask_b32 v20, v20, v22 :: v_dual_cndmask_b32 v19, v19, v21
	s_cbranch_scc1 .LBB20_18
; %bb.16:                               ;   in Loop: Header=BB20_12 Depth=1
	v_readlane_b32 s6, v61, 9
	v_readlane_b32 s7, v61, 10
	;; [unrolled: 1-line block ×3, first 2 shown]
	s_delay_alu instid0(VALU_DEP_3) | instskip(NEXT) | instid1(VALU_DEP_2)
	s_add_u32 s6, s6, s74
	s_addc_u32 s7, s7, s75
	s_delay_alu instid0(VALU_DEP_1) | instskip(SKIP_1) | instid1(VALU_DEP_1)
	s_add_u32 s74, s8, s74
	v_readlane_b32 s8, v61, 12
	s_addc_u32 s75, s8, s75
	s_mov_b32 s8, s68
	.p2align	6
.LBB20_17:                              ;   Parent Loop BB20_12 Depth=1
                                        ; =>  This Inner Loop Header: Depth=2
	global_load_b64 v[21:22], v5, s[74:75]
	s_add_i32 s8, s8, 1
	s_waitcnt vmcnt(0)
	v_add_f64 v[21:22], |v[1:2]|, |v[21:22]|
	global_load_b64 v[1:2], v5, s[6:7]
	s_add_u32 s6, s6, 8
	s_addc_u32 s7, s7, 0
	s_add_u32 s74, s74, 8
	s_addc_u32 s75, s75, 0
	s_cmp_lt_i32 s8, s5
	s_waitcnt vmcnt(0)
	v_add_f64 v[21:22], v[21:22], |v[1:2]|
	s_delay_alu instid0(VALU_DEP_1)
	v_cmp_lt_f64_e32 vcc_lo, v[19:20], v[21:22]
	v_dual_cndmask_b32 v20, v20, v22 :: v_dual_cndmask_b32 v19, v19, v21
	s_cbranch_scc1 .LBB20_17
.LBB20_18:                              ;   in Loop: Header=BB20_12 Depth=1
	v_cvt_f64_u32_e32 v[1:2], v54
	s_mov_b32 s6, 0x9999999a
	s_mov_b32 s7, 0x3fb99999
	;; [unrolled: 1-line block ×3, first 2 shown]
	s_delay_alu instid0(VALU_DEP_1) | instskip(SKIP_1) | instid1(VALU_DEP_2)
	v_div_scale_f64 v[21:22], null, v[1:2], v[1:2], s[6:7]
	v_div_scale_f64 v[27:28], vcc_lo, s[6:7], v[1:2], s[6:7]
	v_rcp_f64_e32 v[23:24], v[21:22]
	s_waitcnt_depctr 0xfff
	v_fma_f64 v[25:26], -v[21:22], v[23:24], 1.0
	s_delay_alu instid0(VALU_DEP_1) | instskip(NEXT) | instid1(VALU_DEP_1)
	v_fma_f64 v[23:24], v[23:24], v[25:26], v[23:24]
	v_fma_f64 v[25:26], -v[21:22], v[23:24], 1.0
	s_delay_alu instid0(VALU_DEP_1) | instskip(NEXT) | instid1(VALU_DEP_1)
	v_fma_f64 v[23:24], v[23:24], v[25:26], v[23:24]
	v_mul_f64 v[25:26], v[27:28], v[23:24]
	s_delay_alu instid0(VALU_DEP_1) | instskip(NEXT) | instid1(VALU_DEP_1)
	v_fma_f64 v[21:22], -v[21:22], v[25:26], v[27:28]
	v_div_fmas_f64 v[21:22], v[21:22], v[23:24], v[25:26]
	s_delay_alu instid0(VALU_DEP_1) | instskip(SKIP_2) | instid1(VALU_DEP_1)
	v_div_fixup_f64 v[1:2], v[21:22], v[1:2], s[6:7]
	s_mov_b32 s6, 0xd2f1a9fc
	s_mov_b32 s7, 0x3f50624d
	v_cmp_gt_f64_e32 vcc_lo, 0x10000000, v[1:2]
	v_cndmask_b32_e64 v4, 0, 1, vcc_lo
	s_and_b32 s5, vcc_lo, exec_lo
	s_cselect_b32 s5, 0xffffff80, 0
	s_delay_alu instid0(VALU_DEP_1) | instskip(NEXT) | instid1(VALU_DEP_1)
	v_lshlrev_b32_e32 v4, 8, v4
	v_ldexp_f64 v[1:2], v[1:2], v4
	s_delay_alu instid0(VALU_DEP_1) | instskip(SKIP_4) | instid1(VALU_DEP_1)
	v_rsq_f64_e32 v[21:22], v[1:2]
	v_cmp_class_f64_e64 vcc_lo, v[1:2], 0x260
	s_waitcnt_depctr 0xfff
	v_mul_f64 v[23:24], v[1:2], v[21:22]
	v_mul_f64 v[21:22], v[21:22], 0.5
	v_fma_f64 v[25:26], -v[21:22], v[23:24], 0.5
	s_delay_alu instid0(VALU_DEP_1) | instskip(SKIP_1) | instid1(VALU_DEP_2)
	v_fma_f64 v[23:24], v[23:24], v[25:26], v[23:24]
	v_fma_f64 v[21:22], v[21:22], v[25:26], v[21:22]
	v_fma_f64 v[25:26], -v[23:24], v[23:24], v[1:2]
	s_delay_alu instid0(VALU_DEP_1) | instskip(NEXT) | instid1(VALU_DEP_1)
	v_fma_f64 v[23:24], v[25:26], v[21:22], v[23:24]
	v_fma_f64 v[25:26], -v[23:24], v[23:24], v[1:2]
	s_delay_alu instid0(VALU_DEP_1) | instskip(SKIP_1) | instid1(VALU_DEP_2)
	v_fma_f64 v[21:22], v[25:26], v[21:22], v[23:24]
	v_mul_f64 v[23:24], v[19:20], s[6:7]
	v_ldexp_f64 v[21:22], v[21:22], s5
	s_delay_alu instid0(VALU_DEP_1)
	v_dual_cndmask_b32 v21, v21, v1 :: v_dual_cndmask_b32 v22, v22, v2
.LBB20_19:                              ;   in Loop: Header=BB20_12 Depth=1
	s_cmp_ge_i32 s39, s30
	s_cbranch_scc1 .LBB20_11
; %bb.20:                               ;   in Loop: Header=BB20_12 Depth=1
	v_add_nc_u32_e32 v1, s68, v0
	s_ashr_i32 s71, s70, 31
	s_mov_b32 s73, s9
	s_lshl_b64 s[6:7], s[70:71], 3
	v_cmp_ge_i32_e64 s5, s72, v0
	v_ashrrev_i32_e32 v2, 31, v1
	s_add_u32 s74, s78, s6
	s_addc_u32 s75, s79, s7
	v_readlane_b32 s6, v61, 13
	v_readlane_b32 s7, v61, 14
	v_lshlrev_b64 v[1:2], 3, v[1:2]
	s_mul_i32 s71, s66, s30
	s_mov_b32 s82, s39
	s_add_i32 s6, s72, s6
	s_delay_alu instid0(SALU_CYCLE_1) | instskip(NEXT) | instid1(VALU_DEP_1)
	s_ashr_i32 s7, s6, 31
	v_add_co_u32 v25, vcc_lo, s31, v1
	v_add_co_ci_u32_e32 v26, vcc_lo, s101, v2, vcc_lo
	v_add_co_u32 v27, vcc_lo, s102, v1
	v_add_co_ci_u32_e32 v28, vcc_lo, s103, v2, vcc_lo
	v_cvt_f64_u32_e32 v[1:2], v54
	s_lshl_b64 s[6:7], s[6:7], 3
	s_delay_alu instid0(SALU_CYCLE_1) | instskip(SKIP_2) | instid1(SALU_CYCLE_1)
	s_add_u32 s76, s22, s6
	s_addc_u32 s77, s23, s7
	s_lshl_b64 s[6:7], s[72:73], 2
	s_add_u32 s78, s14, s6
	s_addc_u32 s79, s15, s7
	s_lshl_b64 s[6:7], s[72:73], 3
	s_add_i32 s73, s72, -1
	s_add_u32 s80, s26, s6
	s_addc_u32 s81, s27, s7
	s_cmp_lg_u32 s72, 1
	v_cmp_gt_i32_e64 s6, s72, v0
	s_cselect_b32 s28, -1, 0
	s_ashr_i32 s69, s68, 31
	s_sub_i32 s29, s70, s68
	s_lshl_b64 s[20:21], s[68:69], 3
	s_mul_i32 s69, s25, s39
	v_sub_co_u32 v31, vcc_lo, v9, s20
	v_subrev_co_ci_u32_e32 v32, vcc_lo, s21, v10, vcc_lo
	s_mov_b32 s20, 0
	s_delay_alu instid0(VALU_DEP_4)
	v_mul_f64 v[29:30], v[19:20], v[1:2]
	v_dual_mov_b32 v1, v17 :: v_dual_mov_b32 v2, v18
	s_branch .LBB20_22
.LBB20_21:                              ;   in Loop: Header=BB20_22 Depth=2
	s_set_inst_prefetch_distance 0x2
	s_or_b32 exec_lo, exec_lo, s21
	s_add_i32 s82, s82, 1
	s_add_i32 s20, s20, 1
	;; [unrolled: 1-line block ×3, first 2 shown]
	v_dual_mov_b32 v1, v17 :: v_dual_mov_b32 v2, v18
	s_cmp_ge_i32 s82, s30
	s_mov_b32 s7, s39
	s_cselect_b32 s8, -1, 0
	s_waitcnt_vscnt null, 0x0
	s_barrier
	buffer_gl0_inv
	s_and_b32 vcc_lo, exec_lo, s8
	s_cbranch_vccnz .LBB20_10
.LBB20_22:                              ;   Parent Loop BB20_12 Depth=1
                                        ; =>  This Loop Header: Depth=2
                                        ;       Child Loop BB20_35 Depth 3
                                        ;       Child Loop BB20_38 Depth 3
	;; [unrolled: 1-line block ×4, first 2 shown]
                                        ;         Child Loop BB20_71 Depth 4
                                        ;         Child Loop BB20_110 Depth 4
	;; [unrolled: 1-line block ×5, first 2 shown]
                                        ;           Child Loop BB20_130 Depth 5
                                        ;         Child Loop BB20_143 Depth 4
                                        ;           Child Loop BB20_144 Depth 5
                                        ;           Child Loop BB20_146 Depth 5
                                        ;         Child Loop BB20_151 Depth 4
                                        ;       Child Loop BB20_194 Depth 3
                                        ;       Child Loop BB20_233 Depth 3
	;; [unrolled: 1-line block ×4, first 2 shown]
	s_ashr_i32 s83, s82, 31
	s_delay_alu instid0(SALU_CYCLE_1) | instskip(NEXT) | instid1(SALU_CYCLE_1)
	s_lshl_b64 s[84:85], s[82:83], 2
	s_add_u32 s84, s33, s84
	s_addc_u32 s85, s100, s85
	global_load_b32 v3, v5, s[84:85]
	s_waitcnt vmcnt(0)
	v_add_nc_u32_e32 v3, -1, v3
	s_delay_alu instid0(VALU_DEP_1)
	v_cmp_ne_u32_e32 vcc_lo, s66, v3
	s_cbranch_vccnz .LBB20_27
; %bb.23:                               ;   in Loop: Header=BB20_22 Depth=2
	s_lshl_b64 s[84:85], s[82:83], 3
	s_delay_alu instid0(SALU_CYCLE_1)
	s_add_u32 s84, s104, s84
	s_addc_u32 s85, vcc_hi, s85
	s_and_b32 vcc_lo, exec_lo, s67
	global_load_b64 v[17:18], v5, s[84:85]
	s_cbranch_vccz .LBB20_28
; %bb.24:                               ;   in Loop: Header=BB20_22 Depth=2
	s_and_saveexec_b32 s7, s2
	s_cbranch_execz .LBB20_26
; %bb.25:                               ;   in Loop: Header=BB20_22 Depth=2
	v_mov_b32_e32 v6, v52
	global_store_b64 v5, v[5:6], s[22:23]
.LBB20_26:                              ;   in Loop: Header=BB20_22 Depth=2
	s_or_b32 exec_lo, exec_lo, s7
	s_waitcnt vmcnt(0)
	s_waitcnt_vscnt null, 0x0
	s_barrier
	s_branch .LBB20_251
.LBB20_27:                              ;   in Loop: Header=BB20_22 Depth=2
	v_dual_mov_b32 v18, v2 :: v_dual_mov_b32 v17, v1
	s_mov_b32 s7, s82
                                        ; implicit-def: $sgpr20
                                        ; implicit-def: $sgpr69
	s_cbranch_execz .LBB20_22
	s_branch .LBB20_10
.LBB20_28:                              ;   in Loop: Header=BB20_22 Depth=2
	s_cbranch_execz .LBB20_251
; %bb.29:                               ;   in Loop: Header=BB20_22 Depth=2
	s_cmp_lg_u32 s20, 0
	s_cselect_b32 s83, -1, 0
	s_cmp_eq_u32 s20, 0
	s_cbranch_scc1 .LBB20_31
; %bb.30:                               ;   in Loop: Header=BB20_22 Depth=2
	s_waitcnt vmcnt(0)
	v_mul_f64 v[3:4], v[17:18], s[16:17]
	v_add_f64 v[33:34], v[17:18], -v[1:2]
	s_delay_alu instid0(VALU_DEP_2) | instskip(SKIP_1) | instid1(VALU_DEP_2)
	v_mul_f64 v[35:36], 0x40240000, |v[3:4]|
	v_fma_f64 v[3:4], 0x40240000, |v[3:4]|, v[1:2]
	v_cmp_lt_f64_e32 vcc_lo, v[33:34], v[35:36]
	s_delay_alu instid0(VALU_DEP_2)
	v_dual_cndmask_b32 v18, v18, v4 :: v_dual_cndmask_b32 v17, v17, v3
.LBB20_31:                              ;   in Loop: Header=BB20_22 Depth=2
	s_add_i32 s7, s82, s71
	s_delay_alu instid0(SALU_CYCLE_1) | instskip(SKIP_1) | instid1(VALU_DEP_1)
	v_lshl_or_b32 v3, s7, 8, v0
	s_mov_b32 s7, exec_lo
	v_add_nc_u32_e32 v4, 1, v3
	s_delay_alu instid0(VALU_DEP_1) | instskip(NEXT) | instid1(VALU_DEP_1)
	v_mul_hi_i32 v6, 0x40000001, v4
	v_lshrrev_b32_e32 v33, 31, v6
	v_ashrrev_i32_e32 v6, 29, v6
	s_delay_alu instid0(VALU_DEP_1) | instskip(NEXT) | instid1(VALU_DEP_1)
	v_add_nc_u32_e32 v6, v6, v33
	v_mul_lo_u32 v6, 0x7fffffff, v6
	s_delay_alu instid0(VALU_DEP_1) | instskip(NEXT) | instid1(VALU_DEP_1)
	v_sub_nc_u32_e32 v4, v4, v6
	v_max_i32_e32 v6, 1, v4
	s_delay_alu instid0(VALU_DEP_1)
	v_mov_b32_e32 v33, v6
	v_cmpx_ne_u32_e32 0x7ffffffe, v3
; %bb.32:                               ;   in Loop: Header=BB20_22 Depth=2
	v_sub_nc_u32_e32 v3, 0x7ffffffe, v3
	s_delay_alu instid0(VALU_DEP_1) | instskip(NEXT) | instid1(VALU_DEP_1)
	v_mul_hi_i32 v4, 0x4000007d, v3
	v_lshrrev_b32_e32 v33, 31, v4
	v_ashrrev_i32_e32 v4, 29, v4
	s_delay_alu instid0(VALU_DEP_1) | instskip(NEXT) | instid1(VALU_DEP_1)
	v_add_nc_u32_e32 v4, v4, v33
	v_mul_lo_u32 v4, 0x7fffff07, v4
	s_delay_alu instid0(VALU_DEP_1) | instskip(NEXT) | instid1(VALU_DEP_1)
	v_sub_nc_u32_e32 v3, v3, v4
	v_max_i32_e32 v33, 1, v3
; %bb.33:                               ;   in Loop: Header=BB20_22 Depth=2
	s_or_b32 exec_lo, exec_lo, s7
	s_and_saveexec_b32 s8, s5
	s_cbranch_execz .LBB20_36
; %bb.34:                               ;   in Loop: Header=BB20_22 Depth=2
	v_dual_mov_b32 v3, v9 :: v_dual_mov_b32 v4, v10
	v_mov_b32_e32 v34, v0
	s_mov_b32 s21, 0
.LBB20_35:                              ;   Parent Loop BB20_12 Depth=1
                                        ;     Parent Loop BB20_22 Depth=2
                                        ; =>    This Inner Loop Header: Depth=3
	v_mul_hi_i32 v35, 0x5e4789c9, v6
	v_mul_hi_i32 v36, 0x4f7a09cd, v33
	s_delay_alu instid0(VALU_DEP_3) | instskip(NEXT) | instid1(VALU_DEP_3)
	v_add_nc_u32_e32 v34, 0x100, v34
	v_lshrrev_b32_e32 v37, 31, v35
	v_ashrrev_i32_e32 v35, 14, v35
	s_delay_alu instid0(VALU_DEP_4) | instskip(SKIP_1) | instid1(VALU_DEP_3)
	v_lshrrev_b32_e32 v38, 31, v36
	v_ashrrev_i32_e32 v36, 14, v36
	v_add_nc_u32_e32 v35, v35, v37
	s_delay_alu instid0(VALU_DEP_2) | instskip(NEXT) | instid1(VALU_DEP_2)
	v_add_nc_u32_e32 v36, v36, v38
	v_mul_i32_i24_e32 v37, 0xadc8, v35
	s_delay_alu instid0(VALU_DEP_2) | instskip(NEXT) | instid1(VALU_DEP_2)
	v_mul_i32_i24_e32 v38, 0xce26, v36
	v_sub_nc_u32_e32 v6, v6, v37
	s_delay_alu instid0(VALU_DEP_2) | instskip(NEXT) | instid1(VALU_DEP_2)
	v_sub_nc_u32_e32 v33, v33, v38
	v_mul_lo_u32 v6, 0xbc8f, v6
	s_delay_alu instid0(VALU_DEP_2) | instskip(NEXT) | instid1(VALU_DEP_2)
	v_mul_lo_u32 v33, 0x9ef4, v33
	v_mad_i32_i24 v6, 0xfffff2b9, v35, v6
	s_delay_alu instid0(VALU_DEP_2) | instskip(NEXT) | instid1(VALU_DEP_2)
	v_mad_i32_i24 v33, 0xfffff131, v36, v33
	v_ashrrev_i32_e32 v35, 31, v6
	s_delay_alu instid0(VALU_DEP_2) | instskip(NEXT) | instid1(VALU_DEP_2)
	v_ashrrev_i32_e32 v36, 31, v33
	v_and_b32_e32 v35, 0x7fffffff, v35
	s_delay_alu instid0(VALU_DEP_2) | instskip(NEXT) | instid1(VALU_DEP_2)
	v_and_b32_e32 v36, 0x7fffff07, v36
	v_add_nc_u32_e32 v6, v35, v6
	s_delay_alu instid0(VALU_DEP_2) | instskip(NEXT) | instid1(VALU_DEP_1)
	v_add_nc_u32_e32 v33, v36, v33
	v_sub_nc_u32_e32 v35, v6, v33
	s_delay_alu instid0(VALU_DEP_1) | instskip(NEXT) | instid1(VALU_DEP_1)
	v_ashrrev_i32_e32 v36, 31, v35
	v_and_b32_e32 v36, 0x7fffffff, v36
	s_delay_alu instid0(VALU_DEP_1) | instskip(NEXT) | instid1(VALU_DEP_1)
	v_add_nc_u32_e32 v35, v36, v35
	v_cvt_f64_i32_e32 v[35:36], v35
	s_delay_alu instid0(VALU_DEP_1) | instskip(NEXT) | instid1(VALU_DEP_1)
	v_div_scale_f64 v[37:38], null, s[64:65], s[64:65], v[35:36]
	v_rcp_f64_e32 v[39:40], v[37:38]
	s_waitcnt_depctr 0xfff
	v_fma_f64 v[41:42], -v[37:38], v[39:40], 1.0
	s_delay_alu instid0(VALU_DEP_1) | instskip(NEXT) | instid1(VALU_DEP_1)
	v_fma_f64 v[39:40], v[39:40], v[41:42], v[39:40]
	v_fma_f64 v[41:42], -v[37:38], v[39:40], 1.0
	s_delay_alu instid0(VALU_DEP_1) | instskip(SKIP_1) | instid1(VALU_DEP_1)
	v_fma_f64 v[39:40], v[39:40], v[41:42], v[39:40]
	v_div_scale_f64 v[41:42], vcc_lo, v[35:36], s[64:65], v[35:36]
	v_mul_f64 v[43:44], v[41:42], v[39:40]
	s_delay_alu instid0(VALU_DEP_1) | instskip(NEXT) | instid1(VALU_DEP_1)
	v_fma_f64 v[37:38], -v[37:38], v[43:44], v[41:42]
	v_div_fmas_f64 v[37:38], v[37:38], v[39:40], v[43:44]
	v_cmp_lt_i32_e32 vcc_lo, s72, v34
	s_or_b32 s21, vcc_lo, s21
	s_delay_alu instid0(VALU_DEP_2) | instskip(SKIP_2) | instid1(VALU_DEP_1)
	v_div_fixup_f64 v[35:36], v[37:38], s[64:65], v[35:36]
	global_store_b64 v[3:4], v[35:36], off
	v_add_co_u32 v3, s7, 0x800, v3
	v_add_co_ci_u32_e64 v4, s7, 0, v4, s7
	s_and_not1_b32 exec_lo, exec_lo, s21
	s_cbranch_execnz .LBB20_35
.LBB20_36:                              ;   in Loop: Header=BB20_22 Depth=2
	s_or_b32 exec_lo, exec_lo, s8
	s_and_saveexec_b32 s21, s6
	s_cbranch_execz .LBB20_39
; %bb.37:                               ;   in Loop: Header=BB20_22 Depth=2
	v_mov_b32_e32 v36, v16
	v_dual_mov_b32 v38, v12 :: v_dual_mov_b32 v37, v11
	v_dual_mov_b32 v3, v27 :: v_dual_mov_b32 v4, v28
	;; [unrolled: 1-line block ×4, first 2 shown]
	s_mov_b32 s84, 0
	s_set_inst_prefetch_distance 0x1
	.p2align	6
.LBB20_38:                              ;   Parent Loop BB20_12 Depth=1
                                        ;     Parent Loop BB20_22 Depth=2
                                        ; =>    This Inner Loop Header: Depth=3
	global_load_b64 v[41:42], v[33:34], off
	v_add_nc_u32_e32 v39, s62, v6
	v_add_nc_u32_e32 v6, 0x100, v6
	s_delay_alu instid0(VALU_DEP_2) | instskip(NEXT) | instid1(VALU_DEP_1)
	v_ashrrev_i32_e32 v40, 31, v39
	v_lshlrev_b64 v[39:40], 3, v[39:40]
	s_delay_alu instid0(VALU_DEP_1) | instskip(NEXT) | instid1(VALU_DEP_2)
	v_add_co_u32 v39, vcc_lo, s22, v39
	v_add_co_ci_u32_e32 v40, vcc_lo, s23, v40, vcc_lo
	v_add_co_u32 v33, vcc_lo, 0x800, v33
	v_add_co_ci_u32_e32 v34, vcc_lo, 0, v34, vcc_lo
	v_cmp_le_i32_e32 vcc_lo, s72, v6
	s_or_b32 s84, vcc_lo, s84
	s_waitcnt vmcnt(0)
	global_store_b64 v[37:38], v[41:42], off
	global_load_b64 v[41:42], v[3:4], off
	v_add_co_u32 v37, s7, 0x800, v37
	v_add_co_u32 v3, s8, 0x800, v3
	v_add_co_ci_u32_e64 v38, s7, 0, v38, s7
	v_add_co_ci_u32_e64 v4, s7, 0, v4, s8
	s_waitcnt vmcnt(0)
	global_store_b64 v[39:40], v[41:42], off
	global_store_b64 v[35:36], v[41:42], off
	v_add_co_u32 v35, s7, 0x800, v35
	s_delay_alu instid0(VALU_DEP_1)
	v_add_co_ci_u32_e64 v36, s7, 0, v36, s7
	s_and_not1_b32 exec_lo, exec_lo, s84
	s_cbranch_execnz .LBB20_38
.LBB20_39:                              ;   in Loop: Header=BB20_22 Depth=2
	s_set_inst_prefetch_distance 0x2
	s_or_b32 exec_lo, exec_lo, s21
	s_and_saveexec_b32 s7, s2
	s_cbranch_execz .LBB20_41
; %bb.40:                               ;   in Loop: Header=BB20_22 Depth=2
	global_load_b64 v[3:4], v5, s[74:75]
	s_waitcnt vmcnt(0)
	global_store_b64 v5, v[3:4], s[76:77]
.LBB20_41:                              ;   in Loop: Header=BB20_22 Depth=2
	s_or_b32 exec_lo, exec_lo, s7
	s_waitcnt vmcnt(0)
	s_waitcnt_vscnt null, 0x0
	s_barrier
	buffer_gl0_inv
	s_and_saveexec_b32 s7, s2
	s_cbranch_execz .LBB20_68
; %bb.42:                               ;   in Loop: Header=BB20_22 Depth=2
	global_load_b64 v[3:4], v5, s[26:27]
	s_mov_b32 s8, 1
	s_mov_b64 s[84:85], s[54:55]
	s_mov_b64 s[86:87], s[52:53]
	;; [unrolled: 1-line block ×5, first 2 shown]
	global_store_b32 v5, v5, s[78:79]
	s_waitcnt vmcnt(0)
	v_add_f64 v[3:4], v[3:4], -v[17:18]
	global_store_b64 v5, v[3:4], s[26:27]
	global_load_b64 v[33:34], v5, s[40:41] offset:8
	s_waitcnt vmcnt(0)
	v_add_f64 v[3:4], |v[3:4]|, |v[33:34]|
	s_branch .LBB20_44
.LBB20_43:                              ;   in Loop: Header=BB20_44 Depth=3
	s_add_u32 s92, s92, 8
	s_addc_u32 s93, s93, 0
	s_add_u32 s90, s90, 8
	s_addc_u32 s91, s91, 0
	;; [unrolled: 2-line block ×4, first 2 shown]
	s_add_i32 s8, s8, 1
	s_add_u32 s84, s84, 8
	s_addc_u32 s85, s85, 0
	s_cmp_eq_u32 s29, s8
	s_cbranch_scc1 .LBB20_65
.LBB20_44:                              ;   Parent Loop BB20_12 Depth=1
                                        ;     Parent Loop BB20_22 Depth=2
                                        ; =>    This Inner Loop Header: Depth=3
	s_add_i32 s98, s8, -1
	s_add_u32 s96, s12, s84
	s_addc_u32 s97, s13, s85
	s_add_u32 s94, s12, s86
	global_load_b64 v[33:34], v5, s[96:97]
	s_addc_u32 s95, s13, s87
	s_cmp_lt_i32 s98, s73
	s_cselect_b32 s21, -1, 0
	s_cmp_ge_i32 s98, s73
	s_waitcnt vmcnt(0)
	v_add_f64 v[37:38], v[33:34], -v[17:18]
	global_store_b64 v5, v[37:38], s[96:97]
	global_load_b64 v[39:40], v5, s[94:95]
	s_waitcnt vmcnt(0)
	v_add_f64 v[33:34], |v[37:38]|, |v[39:40]|
	s_cbranch_scc1 .LBB20_46
; %bb.45:                               ;   in Loop: Header=BB20_44 Depth=3
	s_add_u32 s98, s12, s92
	s_addc_u32 s99, s13, s93
	global_load_b64 v[35:36], v5, s[98:99] offset:16
	s_waitcnt vmcnt(0)
	v_add_f64 v[33:34], v[33:34], |v[35:36]|
.LBB20_46:                              ;   in Loop: Header=BB20_44 Depth=3
	global_load_b64 v[43:44], v5, s[96:97] offset:-8
	v_mov_b32_e32 v35, 0
	v_mov_b32_e32 v36, 0
	s_waitcnt vmcnt(0)
	v_cmp_eq_f64_e32 vcc_lo, 0, v[43:44]
	s_cbranch_vccnz .LBB20_48
; %bb.47:                               ;   in Loop: Header=BB20_44 Depth=3
	v_dual_mov_b32 v35, v43 :: v_dual_and_b32 v36, 0x7fffffff, v44
	s_delay_alu instid0(VALU_DEP_1) | instskip(SKIP_1) | instid1(VALU_DEP_2)
	v_div_scale_f64 v[41:42], null, v[3:4], v[3:4], v[35:36]
	v_div_scale_f64 v[35:36], vcc_lo, v[35:36], v[3:4], v[35:36]
	v_rcp_f64_e32 v[45:46], v[41:42]
	s_waitcnt_depctr 0xfff
	v_fma_f64 v[55:56], -v[41:42], v[45:46], 1.0
	s_delay_alu instid0(VALU_DEP_1) | instskip(NEXT) | instid1(VALU_DEP_1)
	v_fma_f64 v[45:46], v[45:46], v[55:56], v[45:46]
	v_fma_f64 v[55:56], -v[41:42], v[45:46], 1.0
	s_delay_alu instid0(VALU_DEP_1) | instskip(NEXT) | instid1(VALU_DEP_1)
	v_fma_f64 v[45:46], v[45:46], v[55:56], v[45:46]
	v_mul_f64 v[55:56], v[35:36], v[45:46]
	s_delay_alu instid0(VALU_DEP_1) | instskip(NEXT) | instid1(VALU_DEP_1)
	v_fma_f64 v[35:36], -v[41:42], v[55:56], v[35:36]
	v_div_fmas_f64 v[35:36], v[35:36], v[45:46], v[55:56]
	s_delay_alu instid0(VALU_DEP_1)
	v_div_fixup_f64 v[35:36], v[35:36], v[3:4], |v[43:44]|
.LBB20_48:                              ;   in Loop: Header=BB20_44 Depth=3
	v_cmp_neq_f64_e32 vcc_lo, 0, v[39:40]
	s_cbranch_vccz .LBB20_53
; %bb.49:                               ;   in Loop: Header=BB20_44 Depth=3
	v_dual_mov_b32 v41, v39 :: v_dual_and_b32 v42, 0x7fffffff, v40
	s_delay_alu instid0(VALU_DEP_1) | instskip(SKIP_1) | instid1(VALU_DEP_2)
	v_div_scale_f64 v[45:46], null, v[33:34], v[33:34], v[41:42]
	v_div_scale_f64 v[41:42], vcc_lo, v[41:42], v[33:34], v[41:42]
	v_rcp_f64_e32 v[55:56], v[45:46]
	s_waitcnt_depctr 0xfff
	v_fma_f64 v[57:58], -v[45:46], v[55:56], 1.0
	s_delay_alu instid0(VALU_DEP_1) | instskip(NEXT) | instid1(VALU_DEP_1)
	v_fma_f64 v[55:56], v[55:56], v[57:58], v[55:56]
	v_fma_f64 v[57:58], -v[45:46], v[55:56], 1.0
	s_delay_alu instid0(VALU_DEP_1) | instskip(NEXT) | instid1(VALU_DEP_1)
	v_fma_f64 v[55:56], v[55:56], v[57:58], v[55:56]
	v_mul_f64 v[57:58], v[41:42], v[55:56]
	s_delay_alu instid0(VALU_DEP_1) | instskip(NEXT) | instid1(VALU_DEP_1)
	v_fma_f64 v[41:42], -v[45:46], v[57:58], v[41:42]
	v_div_fmas_f64 v[41:42], v[41:42], v[55:56], v[57:58]
	s_delay_alu instid0(VALU_DEP_1) | instskip(NEXT) | instid1(VALU_DEP_1)
	v_div_fixup_f64 v[41:42], v[41:42], v[33:34], |v[39:40]|
	v_cmp_nle_f64_e32 vcc_lo, v[41:42], v[35:36]
	s_cbranch_vccnz .LBB20_54
; %bb.50:                               ;   in Loop: Header=BB20_44 Depth=3
	v_div_scale_f64 v[45:46], null, v[43:44], v[43:44], v[39:40]
	s_add_u32 s98, s12, s92
	s_addc_u32 s99, s13, s93
	s_delay_alu instid0(VALU_DEP_1) | instskip(SKIP_2) | instid1(VALU_DEP_1)
	v_rcp_f64_e32 v[55:56], v[45:46]
	s_waitcnt_depctr 0xfff
	v_fma_f64 v[57:58], -v[45:46], v[55:56], 1.0
	v_fma_f64 v[55:56], v[55:56], v[57:58], v[55:56]
	s_delay_alu instid0(VALU_DEP_1) | instskip(NEXT) | instid1(VALU_DEP_1)
	v_fma_f64 v[57:58], -v[45:46], v[55:56], 1.0
	v_fma_f64 v[55:56], v[55:56], v[57:58], v[55:56]
	v_div_scale_f64 v[57:58], vcc_lo, v[39:40], v[43:44], v[39:40]
	s_delay_alu instid0(VALU_DEP_1) | instskip(NEXT) | instid1(VALU_DEP_1)
	v_mul_f64 v[59:60], v[57:58], v[55:56]
	v_fma_f64 v[45:46], -v[45:46], v[59:60], v[57:58]
	s_delay_alu instid0(VALU_DEP_1) | instskip(SKIP_1) | instid1(VALU_DEP_1)
	v_div_fmas_f64 v[45:46], v[45:46], v[55:56], v[59:60]
	s_and_not1_b32 vcc_lo, exec_lo, s21
	v_div_fixup_f64 v[45:46], v[45:46], v[43:44], v[39:40]
	global_store_b64 v5, v[45:46], s[94:95]
	s_clause 0x1
	global_load_b64 v[55:56], v5, s[96:97]
	global_load_b64 v[57:58], v5, s[98:99] offset:8
	s_waitcnt vmcnt(0)
	v_fma_f64 v[45:46], -v[45:46], v[57:58], v[55:56]
	s_clause 0x1
	global_store_b32 v5, v5, s[88:89]
	global_store_b64 v5, v[45:46], s[96:97]
	s_cbranch_vccnz .LBB20_52
; %bb.51:                               ;   in Loop: Header=BB20_44 Depth=3
	v_mov_b32_e32 v6, v5
	s_add_u32 s98, s12, s90
	s_addc_u32 s99, s13, s91
	global_store_b64 v5, v[5:6], s[98:99]
.LBB20_52:                              ;   in Loop: Header=BB20_44 Depth=3
	v_dual_mov_b32 v46, v34 :: v_dual_mov_b32 v45, v33
	s_cbranch_execz .LBB20_55
	s_branch .LBB20_58
.LBB20_53:                              ;   in Loop: Header=BB20_44 Depth=3
                                        ; implicit-def: $vgpr41_vgpr42
                                        ; implicit-def: $vgpr3_vgpr4
	s_branch .LBB20_59
.LBB20_54:                              ;   in Loop: Header=BB20_44 Depth=3
	v_dual_mov_b32 v46, v34 :: v_dual_mov_b32 v45, v33
.LBB20_55:                              ;   in Loop: Header=BB20_44 Depth=3
	v_div_scale_f64 v[45:46], null, v[39:40], v[39:40], v[43:44]
	s_add_u32 s98, s12, s92
	s_addc_u32 s99, s13, s93
	global_store_b64 v5, v[39:40], s[96:97] offset:-8
	v_rcp_f64_e32 v[55:56], v[45:46]
	s_waitcnt_depctr 0xfff
	v_fma_f64 v[57:58], -v[45:46], v[55:56], 1.0
	s_delay_alu instid0(VALU_DEP_1) | instskip(NEXT) | instid1(VALU_DEP_1)
	v_fma_f64 v[55:56], v[55:56], v[57:58], v[55:56]
	v_fma_f64 v[57:58], -v[45:46], v[55:56], 1.0
	s_delay_alu instid0(VALU_DEP_1) | instskip(SKIP_1) | instid1(VALU_DEP_1)
	v_fma_f64 v[55:56], v[55:56], v[57:58], v[55:56]
	v_div_scale_f64 v[57:58], vcc_lo, v[43:44], v[39:40], v[43:44]
	v_mul_f64 v[59:60], v[57:58], v[55:56]
	s_delay_alu instid0(VALU_DEP_1) | instskip(NEXT) | instid1(VALU_DEP_1)
	v_fma_f64 v[45:46], -v[45:46], v[59:60], v[57:58]
	v_div_fmas_f64 v[45:46], v[45:46], v[55:56], v[59:60]
	global_load_b64 v[55:56], v5, s[98:99] offset:8
	s_and_not1_b32 vcc_lo, exec_lo, s21
	v_div_fixup_f64 v[39:40], v[45:46], v[39:40], v[43:44]
	s_waitcnt vmcnt(0)
	s_delay_alu instid0(VALU_DEP_1)
	v_fma_f64 v[43:44], -v[37:38], v[39:40], v[55:56]
	s_clause 0x1
	global_store_b32 v5, v51, s[88:89]
	global_store_b64 v5, v[43:44], s[96:97]
	s_cbranch_vccnz .LBB20_57
; %bb.56:                               ;   in Loop: Header=BB20_44 Depth=3
	global_load_b64 v[43:44], v5, s[98:99] offset:16
	s_add_u32 s96, s12, s90
	s_addc_u32 s97, s13, s91
	s_waitcnt vmcnt(0)
	v_mul_f64 v[45:46], v[43:44], -v[39:40]
	s_clause 0x1
	global_store_b64 v5, v[43:44], s[96:97]
	global_store_b64 v5, v[45:46], s[98:99] offset:16
.LBB20_57:                              ;   in Loop: Header=BB20_44 Depth=3
	v_dual_mov_b32 v46, v4 :: v_dual_mov_b32 v45, v3
	s_clause 0x1
	global_store_b64 v5, v[37:38], s[98:99] offset:8
	global_store_b64 v5, v[39:40], s[94:95]
.LBB20_58:                              ;   in Loop: Header=BB20_44 Depth=3
	s_delay_alu instid0(VALU_DEP_1)
	v_dual_mov_b32 v3, v45 :: v_dual_mov_b32 v4, v46
	s_cbranch_execnz .LBB20_62
.LBB20_59:                              ;   in Loop: Header=BB20_44 Depth=3
	s_and_not1_b32 vcc_lo, exec_lo, s21
	global_store_b32 v5, v5, s[88:89]
	s_cbranch_vccnz .LBB20_61
; %bb.60:                               ;   in Loop: Header=BB20_44 Depth=3
	v_mov_b32_e32 v6, v5
	s_add_u32 s94, s12, s90
	s_addc_u32 s95, s13, s91
	global_store_b64 v5, v[5:6], s[94:95]
.LBB20_61:                              ;   in Loop: Header=BB20_44 Depth=3
	v_mov_b32_e32 v41, 0
	v_dual_mov_b32 v42, 0 :: v_dual_mov_b32 v3, v33
	v_mov_b32_e32 v4, v34
.LBB20_62:                              ;   in Loop: Header=BB20_44 Depth=3
	s_delay_alu instid0(VALU_DEP_2) | instskip(SKIP_1) | instid1(VALU_DEP_1)
	v_max_f64 v[33:34], v[41:42], v[41:42]
	v_max_f64 v[35:36], v[35:36], v[35:36]
	v_max_f64 v[33:34], v[35:36], v[33:34]
	s_delay_alu instid0(VALU_DEP_1)
	v_cmp_nle_f64_e32 vcc_lo, v[33:34], v[7:8]
	s_cbranch_vccnz .LBB20_43
; %bb.63:                               ;   in Loop: Header=BB20_44 Depth=3
	global_load_b32 v6, v5, s[78:79]
	s_waitcnt vmcnt(0)
	v_cmp_ne_u32_e32 vcc_lo, 0, v6
	s_cbranch_vccnz .LBB20_43
; %bb.64:                               ;   in Loop: Header=BB20_44 Depth=3
	v_mov_b32_e32 v6, s8
	global_store_b32 v5, v6, s[78:79]
	s_branch .LBB20_43
.LBB20_65:                              ;   in Loop: Header=BB20_22 Depth=2
	global_load_b64 v[33:34], v5, s[80:81]
	v_mul_f64 v[3:4], v[7:8], v[3:4]
	s_waitcnt vmcnt(0)
	s_delay_alu instid0(VALU_DEP_1) | instskip(NEXT) | instid1(VALU_DEP_1)
	v_cmp_le_f64_e64 s8, |v[33:34]|, v[3:4]
	s_and_b32 vcc_lo, exec_lo, s8
	s_cbranch_vccz .LBB20_68
; %bb.66:                               ;   in Loop: Header=BB20_22 Depth=2
	global_load_b32 v3, v5, s[78:79]
	s_waitcnt vmcnt(0)
	v_cmp_ne_u32_e32 vcc_lo, 0, v3
	s_cbranch_vccnz .LBB20_68
; %bb.67:                               ;   in Loop: Header=BB20_22 Depth=2
	global_store_b32 v5, v54, s[78:79]
.LBB20_68:                              ;   in Loop: Header=BB20_22 Depth=2
	s_or_b32 exec_lo, exec_lo, s7
	v_add_f64 v[1:2], v[17:18], -v[1:2]
	s_mov_b32 s95, 0
	s_mov_b32 s96, 0
	s_delay_alu instid0(VALU_DEP_1)
	v_cmp_gt_f64_e64 s94, |v[1:2]|, v[23:24]
.LBB20_69:                              ;   Parent Loop BB20_12 Depth=1
                                        ;     Parent Loop BB20_22 Depth=2
                                        ; =>    This Loop Header: Depth=3
                                        ;         Child Loop BB20_71 Depth 4
                                        ;         Child Loop BB20_110 Depth 4
	;; [unrolled: 1-line block ×5, first 2 shown]
                                        ;           Child Loop BB20_130 Depth 5
                                        ;         Child Loop BB20_143 Depth 4
                                        ;           Child Loop BB20_144 Depth 5
                                        ;           Child Loop BB20_146 Depth 5
                                        ;         Child Loop BB20_151 Depth 4
	v_mov_b32_e32 v1, 0
	v_mov_b32_e32 v2, 0
	v_bfrev_b32_e32 v6, -2
	s_and_saveexec_b32 s8, s5
	s_cbranch_execz .LBB20_73
; %bb.70:                               ;   in Loop: Header=BB20_69 Depth=3
	v_mov_b32_e32 v1, 0
	v_dual_mov_b32 v2, 0 :: v_dual_mov_b32 v3, v9
	v_bfrev_b32_e32 v6, -2
	v_dual_mov_b32 v4, v10 :: v_dual_mov_b32 v33, v0
	s_mov_b32 s21, 0
	.p2align	6
.LBB20_71:                              ;   Parent Loop BB20_12 Depth=1
                                        ;     Parent Loop BB20_22 Depth=2
                                        ;       Parent Loop BB20_69 Depth=3
                                        ; =>      This Inner Loop Header: Depth=4
	global_load_b64 v[34:35], v[3:4], off
	v_cmp_eq_u32_e32 vcc_lo, 0x7fffffff, v6
	v_add_co_u32 v3, s7, 0x800, v3
	s_delay_alu instid0(VALU_DEP_1) | instskip(SKIP_2) | instid1(VALU_DEP_1)
	v_add_co_ci_u32_e64 v4, s7, 0, v4, s7
	s_waitcnt vmcnt(0)
	v_cmp_lt_f64_e64 s84, v[1:2], |v[34:35]|
	s_or_b32 vcc_lo, s84, vcc_lo
	v_dual_cndmask_b32 v1, v1, v34 :: v_dual_add_nc_u32 v36, 1, v33
	s_delay_alu instid0(VALU_DEP_1) | instskip(NEXT) | instid1(VALU_DEP_1)
	v_dual_cndmask_b32 v6, v6, v36 :: v_dual_and_b32 v35, 0x7fffffff, v35
	v_dual_cndmask_b32 v2, v2, v35 :: v_dual_add_nc_u32 v33, 0x100, v33
	s_delay_alu instid0(VALU_DEP_1) | instskip(NEXT) | instid1(VALU_DEP_1)
	v_cmp_lt_i32_e64 s7, s72, v33
	s_or_b32 s21, s7, s21
	s_delay_alu instid0(SALU_CYCLE_1)
	s_and_not1_b32 exec_lo, exec_lo, s21
	s_cbranch_execnz .LBB20_71
; %bb.72:                               ;   in Loop: Header=BB20_69 Depth=3
	s_or_b32 exec_lo, exec_lo, s21
.LBB20_73:                              ;   in Loop: Header=BB20_69 Depth=3
	s_delay_alu instid0(SALU_CYCLE_1)
	s_or_b32 exec_lo, exec_lo, s8
	ds_store_b64 v49, v[1:2]
	ds_store_b32 v50, v6 offset:4096
	s_waitcnt lgkmcnt(0)
	s_waitcnt_vscnt null, 0x0
	s_barrier
	buffer_gl0_inv
	s_and_saveexec_b32 s8, s0
	s_cbranch_execz .LBB20_79
; %bb.74:                               ;   in Loop: Header=BB20_69 Depth=3
	v_add_nc_u32_e32 v3, v50, v47
	s_mov_b32 s84, exec_lo
	ds_load_b32 v33, v48 offset:512
	ds_load_b64 v[3:4], v3 offset:1024
	s_waitcnt lgkmcnt(0)
	v_cmp_lt_f64_e64 s21, v[1:2], v[3:4]
	v_cmpx_nlt_f64_e32 v[1:2], v[3:4]
; %bb.75:                               ;   in Loop: Header=BB20_69 Depth=3
	v_cmp_eq_f64_e32 vcc_lo, v[1:2], v[3:4]
	v_cmp_gt_i32_e64 s7, v6, v33
	s_delay_alu instid0(VALU_DEP_4) | instskip(NEXT) | instid1(VALU_DEP_1)
	s_and_not1_b32 s21, s21, exec_lo
	s_and_b32 s7, vcc_lo, s7
	s_delay_alu instid0(SALU_CYCLE_1) | instskip(NEXT) | instid1(SALU_CYCLE_1)
	s_and_b32 s7, s7, exec_lo
	s_or_b32 s21, s21, s7
; %bb.76:                               ;   in Loop: Header=BB20_69 Depth=3
	s_or_b32 exec_lo, exec_lo, s84
	s_and_saveexec_b32 s7, s21
	s_cbranch_execz .LBB20_78
; %bb.77:                               ;   in Loop: Header=BB20_69 Depth=3
	v_dual_mov_b32 v6, v33 :: v_dual_mov_b32 v1, v3
	v_mov_b32_e32 v2, v4
	ds_store_b64 v49, v[3:4]
	ds_store_b32 v50, v33 offset:4096
.LBB20_78:                              ;   in Loop: Header=BB20_69 Depth=3
	s_or_b32 exec_lo, exec_lo, s7
.LBB20_79:                              ;   in Loop: Header=BB20_69 Depth=3
	s_delay_alu instid0(SALU_CYCLE_1)
	s_or_b32 exec_lo, exec_lo, s8
	s_waitcnt lgkmcnt(0)
	s_barrier
	buffer_gl0_inv
	s_and_saveexec_b32 s8, s1
	s_cbranch_execz .LBB20_85
; %bb.80:                               ;   in Loop: Header=BB20_69 Depth=3
	v_add_nc_u32_e32 v3, v50, v47
	s_mov_b32 s84, exec_lo
	ds_load_b32 v33, v48 offset:256
	ds_load_b64 v[3:4], v3 offset:512
	s_waitcnt lgkmcnt(0)
	v_cmp_lt_f64_e64 s21, v[1:2], v[3:4]
	v_cmpx_nlt_f64_e32 v[1:2], v[3:4]
; %bb.81:                               ;   in Loop: Header=BB20_69 Depth=3
	v_cmp_eq_f64_e32 vcc_lo, v[1:2], v[3:4]
	v_cmp_gt_i32_e64 s7, v6, v33
	s_delay_alu instid0(VALU_DEP_4) | instskip(NEXT) | instid1(VALU_DEP_1)
	s_and_not1_b32 s21, s21, exec_lo
	s_and_b32 s7, vcc_lo, s7
	s_delay_alu instid0(SALU_CYCLE_1) | instskip(NEXT) | instid1(SALU_CYCLE_1)
	s_and_b32 s7, s7, exec_lo
	s_or_b32 s21, s21, s7
; %bb.82:                               ;   in Loop: Header=BB20_69 Depth=3
	s_or_b32 exec_lo, exec_lo, s84
	s_and_saveexec_b32 s7, s21
	s_cbranch_execz .LBB20_84
; %bb.83:                               ;   in Loop: Header=BB20_69 Depth=3
	v_dual_mov_b32 v6, v33 :: v_dual_mov_b32 v1, v3
	v_mov_b32_e32 v2, v4
	ds_store_b64 v49, v[3:4]
	ds_store_b32 v50, v33 offset:4096
.LBB20_84:                              ;   in Loop: Header=BB20_69 Depth=3
	s_or_b32 exec_lo, exec_lo, s7
.LBB20_85:                              ;   in Loop: Header=BB20_69 Depth=3
	s_delay_alu instid0(SALU_CYCLE_1)
	s_or_b32 exec_lo, exec_lo, s8
	s_waitcnt lgkmcnt(0)
	s_barrier
	buffer_gl0_inv
	s_and_saveexec_b32 s84, s3
	s_cbranch_execz .LBB20_108
; %bb.86:                               ;   in Loop: Header=BB20_69 Depth=3
	v_add_nc_u32_e32 v33, v50, v47
	s_mov_b32 s21, exec_lo
	ds_load_b32 v34, v48 offset:128
	ds_load_b64 v[3:4], v33 offset:256
	s_waitcnt lgkmcnt(0)
	v_cmp_lt_f64_e64 s8, v[1:2], v[3:4]
	v_cmpx_nlt_f64_e32 v[1:2], v[3:4]
; %bb.87:                               ;   in Loop: Header=BB20_69 Depth=3
	v_cmp_eq_f64_e32 vcc_lo, v[1:2], v[3:4]
	v_cmp_gt_i32_e64 s7, v6, v34
	s_delay_alu instid0(VALU_DEP_4) | instskip(NEXT) | instid1(VALU_DEP_1)
	s_and_not1_b32 s8, s8, exec_lo
	s_and_b32 s7, vcc_lo, s7
	s_delay_alu instid0(SALU_CYCLE_1) | instskip(NEXT) | instid1(SALU_CYCLE_1)
	s_and_b32 s7, s7, exec_lo
	s_or_b32 s8, s8, s7
; %bb.88:                               ;   in Loop: Header=BB20_69 Depth=3
	s_or_b32 exec_lo, exec_lo, s21
	s_and_saveexec_b32 s7, s8
	s_cbranch_execz .LBB20_90
; %bb.89:                               ;   in Loop: Header=BB20_69 Depth=3
	v_dual_mov_b32 v1, v3 :: v_dual_mov_b32 v2, v4
	v_mov_b32_e32 v6, v34
	ds_store_b64 v49, v[3:4]
	ds_store_b32 v50, v34 offset:4096
.LBB20_90:                              ;   in Loop: Header=BB20_69 Depth=3
	s_or_b32 exec_lo, exec_lo, s7
	ds_load_b64 v[3:4], v33 offset:128
	ds_load_b32 v34, v48 offset:64
	s_mov_b32 s21, exec_lo
	s_waitcnt lgkmcnt(1)
	v_cmp_lt_f64_e64 s8, v[1:2], v[3:4]
	v_cmpx_nlt_f64_e32 v[1:2], v[3:4]
	s_cbranch_execz .LBB20_92
; %bb.91:                               ;   in Loop: Header=BB20_69 Depth=3
	v_cmp_eq_f64_e32 vcc_lo, v[1:2], v[3:4]
	s_waitcnt lgkmcnt(0)
	v_cmp_gt_i32_e64 s7, v6, v34
	s_delay_alu instid0(VALU_DEP_4) | instskip(NEXT) | instid1(VALU_DEP_1)
	s_and_not1_b32 s8, s8, exec_lo
	s_and_b32 s7, vcc_lo, s7
	s_delay_alu instid0(SALU_CYCLE_1) | instskip(NEXT) | instid1(SALU_CYCLE_1)
	s_and_b32 s7, s7, exec_lo
	s_or_b32 s8, s8, s7
.LBB20_92:                              ;   in Loop: Header=BB20_69 Depth=3
	s_or_b32 exec_lo, exec_lo, s21
	s_delay_alu instid0(VALU_DEP_2)
	s_and_saveexec_b32 s7, s8
	s_cbranch_execz .LBB20_94
; %bb.93:                               ;   in Loop: Header=BB20_69 Depth=3
	v_dual_mov_b32 v1, v3 :: v_dual_mov_b32 v2, v4
	s_waitcnt lgkmcnt(0)
	v_mov_b32_e32 v6, v34
	ds_store_b64 v49, v[3:4]
	ds_store_b32 v50, v34 offset:4096
.LBB20_94:                              ;   in Loop: Header=BB20_69 Depth=3
	s_or_b32 exec_lo, exec_lo, s7
	ds_load_b64 v[3:4], v33 offset:64
	s_waitcnt lgkmcnt(1)
	ds_load_b32 v34, v48 offset:32
	s_mov_b32 s21, exec_lo
	s_waitcnt lgkmcnt(1)
	v_cmp_lt_f64_e64 s8, v[1:2], v[3:4]
	v_cmpx_nlt_f64_e32 v[1:2], v[3:4]
	s_cbranch_execz .LBB20_96
; %bb.95:                               ;   in Loop: Header=BB20_69 Depth=3
	v_cmp_eq_f64_e32 vcc_lo, v[1:2], v[3:4]
	s_waitcnt lgkmcnt(0)
	v_cmp_gt_i32_e64 s7, v6, v34
	s_delay_alu instid0(VALU_DEP_4) | instskip(NEXT) | instid1(VALU_DEP_1)
	s_and_not1_b32 s8, s8, exec_lo
	s_and_b32 s7, vcc_lo, s7
	s_delay_alu instid0(SALU_CYCLE_1) | instskip(NEXT) | instid1(SALU_CYCLE_1)
	s_and_b32 s7, s7, exec_lo
	s_or_b32 s8, s8, s7
.LBB20_96:                              ;   in Loop: Header=BB20_69 Depth=3
	s_or_b32 exec_lo, exec_lo, s21
	s_delay_alu instid0(VALU_DEP_2)
	s_and_saveexec_b32 s7, s8
	s_cbranch_execz .LBB20_98
; %bb.97:                               ;   in Loop: Header=BB20_69 Depth=3
	v_dual_mov_b32 v1, v3 :: v_dual_mov_b32 v2, v4
	s_waitcnt lgkmcnt(0)
	v_mov_b32_e32 v6, v34
	ds_store_b64 v49, v[3:4]
	ds_store_b32 v50, v34 offset:4096
.LBB20_98:                              ;   in Loop: Header=BB20_69 Depth=3
	s_or_b32 exec_lo, exec_lo, s7
	ds_load_b64 v[3:4], v33 offset:32
	s_waitcnt lgkmcnt(1)
	ds_load_b32 v34, v48 offset:16
	s_mov_b32 s21, exec_lo
	s_waitcnt lgkmcnt(1)
	v_cmp_lt_f64_e64 s8, v[1:2], v[3:4]
	v_cmpx_nlt_f64_e32 v[1:2], v[3:4]
	s_cbranch_execz .LBB20_100
; %bb.99:                               ;   in Loop: Header=BB20_69 Depth=3
	v_cmp_eq_f64_e32 vcc_lo, v[1:2], v[3:4]
	s_waitcnt lgkmcnt(0)
	v_cmp_gt_i32_e64 s7, v6, v34
	s_delay_alu instid0(VALU_DEP_4) | instskip(NEXT) | instid1(VALU_DEP_1)
	s_and_not1_b32 s8, s8, exec_lo
	s_and_b32 s7, vcc_lo, s7
	s_delay_alu instid0(SALU_CYCLE_1) | instskip(NEXT) | instid1(SALU_CYCLE_1)
	s_and_b32 s7, s7, exec_lo
	s_or_b32 s8, s8, s7
.LBB20_100:                             ;   in Loop: Header=BB20_69 Depth=3
	s_or_b32 exec_lo, exec_lo, s21
	s_delay_alu instid0(VALU_DEP_2)
	s_and_saveexec_b32 s7, s8
	s_cbranch_execz .LBB20_102
; %bb.101:                              ;   in Loop: Header=BB20_69 Depth=3
	v_dual_mov_b32 v1, v3 :: v_dual_mov_b32 v2, v4
	s_waitcnt lgkmcnt(0)
	v_mov_b32_e32 v6, v34
	ds_store_b64 v49, v[3:4]
	ds_store_b32 v50, v34 offset:4096
.LBB20_102:                             ;   in Loop: Header=BB20_69 Depth=3
	s_or_b32 exec_lo, exec_lo, s7
	ds_load_b64 v[3:4], v33 offset:16
	s_waitcnt lgkmcnt(1)
	ds_load_b32 v34, v48 offset:8
	s_mov_b32 s21, exec_lo
	s_waitcnt lgkmcnt(1)
	v_cmp_lt_f64_e64 s8, v[1:2], v[3:4]
	v_cmpx_nlt_f64_e32 v[1:2], v[3:4]
	s_cbranch_execz .LBB20_104
; %bb.103:                              ;   in Loop: Header=BB20_69 Depth=3
	v_cmp_eq_f64_e32 vcc_lo, v[1:2], v[3:4]
	s_waitcnt lgkmcnt(0)
	v_cmp_gt_i32_e64 s7, v6, v34
	s_delay_alu instid0(VALU_DEP_4) | instskip(NEXT) | instid1(VALU_DEP_1)
	s_and_not1_b32 s8, s8, exec_lo
	s_and_b32 s7, vcc_lo, s7
	s_delay_alu instid0(SALU_CYCLE_1) | instskip(NEXT) | instid1(SALU_CYCLE_1)
	s_and_b32 s7, s7, exec_lo
	s_or_b32 s8, s8, s7
.LBB20_104:                             ;   in Loop: Header=BB20_69 Depth=3
	s_or_b32 exec_lo, exec_lo, s21
	s_delay_alu instid0(VALU_DEP_2)
	s_and_saveexec_b32 s7, s8
	s_cbranch_execz .LBB20_106
; %bb.105:                              ;   in Loop: Header=BB20_69 Depth=3
	v_dual_mov_b32 v1, v3 :: v_dual_mov_b32 v2, v4
	s_waitcnt lgkmcnt(0)
	v_mov_b32_e32 v6, v34
	ds_store_b64 v49, v[3:4]
	ds_store_b32 v50, v34 offset:4096
.LBB20_106:                             ;   in Loop: Header=BB20_69 Depth=3
	s_or_b32 exec_lo, exec_lo, s7
	ds_load_b64 v[3:4], v33 offset:8
	s_waitcnt lgkmcnt(0)
	v_cmp_eq_f64_e32 vcc_lo, v[1:2], v[3:4]
	v_cmp_lt_f64_e64 s7, v[1:2], v[3:4]
	ds_load_b32 v1, v48 offset:4
	s_waitcnt lgkmcnt(0)
	v_cmp_gt_i32_e64 s8, v6, v1
	s_delay_alu instid0(VALU_DEP_1) | instskip(NEXT) | instid1(SALU_CYCLE_1)
	s_and_b32 s8, vcc_lo, s8
	s_or_b32 s7, s7, s8
	s_delay_alu instid0(SALU_CYCLE_1)
	s_and_b32 exec_lo, exec_lo, s7
	s_cbranch_execz .LBB20_108
; %bb.107:                              ;   in Loop: Header=BB20_69 Depth=3
	ds_store_b64 v49, v[3:4]
	ds_store_b32 v50, v1 offset:4096
.LBB20_108:                             ;   in Loop: Header=BB20_69 Depth=3
	s_or_b32 exec_lo, exec_lo, s84
	s_waitcnt lgkmcnt(0)
	s_barrier
	buffer_gl0_inv
	s_and_saveexec_b32 s8, s5
	s_cbranch_execz .LBB20_111
; %bb.109:                              ;   in Loop: Header=BB20_69 Depth=3
	global_load_b64 v[1:2], v5, s[76:77]
	ds_load_b64 v[3:4], v53
	v_mov_b32_e32 v6, v0
	s_mov_b32 s21, 0
	s_waitcnt vmcnt(0)
	v_cmp_gt_f64_e64 vcc_lo, |v[1:2]|, s[16:17]
	v_and_b32_e32 v2, 0x7fffffff, v2
	s_delay_alu instid0(VALU_DEP_1) | instskip(SKIP_1) | instid1(VALU_DEP_1)
	v_cndmask_b32_e32 v2, s17, v2, vcc_lo
	v_cndmask_b32_e32 v1, s16, v1, vcc_lo
	v_mul_f64 v[1:2], v[29:30], v[1:2]
	s_waitcnt lgkmcnt(0)
	s_delay_alu instid0(VALU_DEP_1) | instskip(NEXT) | instid1(VALU_DEP_1)
	v_div_scale_f64 v[33:34], null, v[3:4], v[3:4], v[1:2]
	v_rcp_f64_e32 v[35:36], v[33:34]
	s_waitcnt_depctr 0xfff
	v_fma_f64 v[37:38], -v[33:34], v[35:36], 1.0
	s_delay_alu instid0(VALU_DEP_1) | instskip(NEXT) | instid1(VALU_DEP_1)
	v_fma_f64 v[35:36], v[35:36], v[37:38], v[35:36]
	v_fma_f64 v[37:38], -v[33:34], v[35:36], 1.0
	s_delay_alu instid0(VALU_DEP_1) | instskip(SKIP_1) | instid1(VALU_DEP_1)
	v_fma_f64 v[35:36], v[35:36], v[37:38], v[35:36]
	v_div_scale_f64 v[37:38], vcc_lo, v[1:2], v[3:4], v[1:2]
	v_mul_f64 v[39:40], v[37:38], v[35:36]
	s_delay_alu instid0(VALU_DEP_1) | instskip(NEXT) | instid1(VALU_DEP_1)
	v_fma_f64 v[33:34], -v[33:34], v[39:40], v[37:38]
	v_div_fmas_f64 v[33:34], v[33:34], v[35:36], v[39:40]
	s_delay_alu instid0(VALU_DEP_1)
	v_div_fixup_f64 v[1:2], v[33:34], v[3:4], v[1:2]
	v_dual_mov_b32 v3, v9 :: v_dual_mov_b32 v4, v10
	.p2align	6
.LBB20_110:                             ;   Parent Loop BB20_12 Depth=1
                                        ;     Parent Loop BB20_22 Depth=2
                                        ;       Parent Loop BB20_69 Depth=3
                                        ; =>      This Inner Loop Header: Depth=4
	global_load_b64 v[33:34], v[3:4], off
	v_add_nc_u32_e32 v6, 0x100, v6
	s_delay_alu instid0(VALU_DEP_1)
	v_cmp_lt_i32_e32 vcc_lo, s72, v6
	s_or_b32 s21, vcc_lo, s21
	s_waitcnt vmcnt(0)
	v_mul_f64 v[33:34], v[1:2], v[33:34]
	global_store_b64 v[3:4], v[33:34], off
	v_add_co_u32 v3, s7, 0x800, v3
	s_delay_alu instid0(VALU_DEP_1)
	v_add_co_ci_u32_e64 v4, s7, 0, v4, s7
	s_and_not1_b32 exec_lo, exec_lo, s21
	s_cbranch_execnz .LBB20_110
.LBB20_111:                             ;   in Loop: Header=BB20_69 Depth=3
	s_or_b32 exec_lo, exec_lo, s8
	s_waitcnt_vscnt null, 0x0
	s_barrier
	buffer_gl0_inv
	s_and_saveexec_b32 s97, s2
	s_cbranch_execz .LBB20_139
; %bb.112:                              ;   in Loop: Header=BB20_69 Depth=3
	s_clause 0x1
	global_load_b128 v[1:4], v5, s[26:27]
	global_load_b64 v[33:34], v5, s[46:47]
	s_and_not1_b32 vcc_lo, exec_lo, s28
	s_mov_b64 s[84:85], s[58:59]
	s_mov_b64 s[86:87], s[56:57]
	;; [unrolled: 1-line block ×3, first 2 shown]
	s_mov_b32 s7, s73
	s_waitcnt vmcnt(1)
	v_max_f64 v[3:4], |v[3:4]|, |v[3:4]|
	s_waitcnt vmcnt(0)
	v_max_f64 v[33:34], |v[33:34]|, |v[33:34]|
	v_max_f64 v[1:2], |v[1:2]|, |v[1:2]|
	s_delay_alu instid0(VALU_DEP_2) | instskip(NEXT) | instid1(VALU_DEP_1)
	v_max_f64 v[3:4], v[3:4], v[33:34]
	v_max_f64 v[33:34], v[1:2], v[3:4]
	s_cbranch_vccnz .LBB20_114
	.p2align	6
.LBB20_113:                             ;   Parent Loop BB20_12 Depth=1
                                        ;     Parent Loop BB20_22 Depth=2
                                        ;       Parent Loop BB20_69 Depth=3
                                        ; =>      This Inner Loop Header: Depth=4
	s_clause 0x2
	global_load_b64 v[1:2], v5, s[86:87]
	global_load_b64 v[3:4], v5, s[88:89]
	;; [unrolled: 1-line block ×3, first 2 shown]
	v_max_f64 v[33:34], v[33:34], v[33:34]
	s_add_i32 s7, s7, -1
	s_add_u32 s88, s88, 8
	s_addc_u32 s89, s89, 0
	s_add_u32 s86, s86, 8
	s_addc_u32 s87, s87, 0
	;; [unrolled: 2-line block ×3, first 2 shown]
	s_cmp_lg_u32 s7, 0
	s_waitcnt vmcnt(2)
	v_max_f64 v[1:2], |v[1:2]|, |v[1:2]|
	s_waitcnt vmcnt(1)
	v_max_f64 v[3:4], |v[3:4]|, |v[3:4]|
	;; [unrolled: 2-line block ×3, first 2 shown]
	s_delay_alu instid0(VALU_DEP_3) | instskip(NEXT) | instid1(VALU_DEP_2)
	v_max_f64 v[1:2], v[33:34], v[1:2]
	v_max_f64 v[3:4], v[35:36], v[3:4]
	s_delay_alu instid0(VALU_DEP_1)
	v_max_f64 v[33:34], v[1:2], v[3:4]
	s_cbranch_scc1 .LBB20_113
.LBB20_114:                             ;   in Loop: Header=BB20_69 Depth=3
	s_mov_b32 s84, 1
	s_mov_b64 s[86:87], 0
	s_mov_b32 s7, s72
	s_mov_b64 s[88:89], s[14:15]
	s_branch .LBB20_116
.LBB20_115:                             ;   in Loop: Header=BB20_116 Depth=4
	s_add_u32 s92, s92, s86
	s_addc_u32 s93, s93, s87
	s_add_i32 s84, s84, 1
	global_load_b64 v[35:36], v5, s[92:93]
	s_add_u32 s86, s86, 8
	s_addc_u32 s87, s87, 0
	s_add_u32 s88, s88, 4
	s_addc_u32 s89, s89, 0
	s_add_i32 s7, s7, -1
	s_delay_alu instid0(SALU_CYCLE_1)
	s_cmp_lg_u32 s7, 0
	s_waitcnt vmcnt(0)
	v_fma_f64 v[1:2], -v[3:4], v[35:36], v[1:2]
	global_store_b64 v5, v[1:2], s[90:91]
	s_cbranch_scc0 .LBB20_120
.LBB20_116:                             ;   Parent Loop BB20_12 Depth=1
                                        ;     Parent Loop BB20_22 Depth=2
                                        ;       Parent Loop BB20_69 Depth=3
                                        ; =>      This Inner Loop Header: Depth=4
	global_load_b32 v1, v5, s[88:89]
	s_waitcnt vmcnt(0)
	v_cmp_ne_u32_e32 vcc_lo, 0, v1
	s_cbranch_vccz .LBB20_118
; %bb.117:                              ;   in Loop: Header=BB20_116 Depth=4
	s_add_u32 s92, s22, s86
	s_addc_u32 s93, s23, s87
	s_mov_b32 s85, 0
	global_load_b128 v[1:4], v5, s[92:93]
	s_lshl_b64 s[90:91], s[84:85], 3
	s_delay_alu instid0(SALU_CYCLE_1)
	s_add_u32 s90, s22, s90
	s_addc_u32 s91, s23, s91
	s_waitcnt vmcnt(0)
	global_store_b64 v5, v[3:4], s[92:93]
	s_mov_b64 s[92:93], s[42:43]
	s_cbranch_execnz .LBB20_115
	s_branch .LBB20_119
.LBB20_118:                             ;   in Loop: Header=BB20_116 Depth=4
                                        ; implicit-def: $sgpr90_sgpr91
                                        ; implicit-def: $vgpr1_vgpr2
	s_mov_b64 s[92:93], s[42:43]
.LBB20_119:                             ;   in Loop: Header=BB20_116 Depth=4
	s_add_u32 s92, s22, s86
	s_addc_u32 s93, s23, s87
	s_add_u32 s90, s92, 8
	s_addc_u32 s91, s93, 0
	;; [unrolled: 2-line block ×3, first 2 shown]
	s_clause 0x1
	global_load_b64 v[1:2], v5, s[92:93] offset:8
	global_load_b64 v[3:4], v5, s[98:99]
	s_mov_b64 s[92:93], s[22:23]
	s_branch .LBB20_115
.LBB20_120:                             ;   in Loop: Header=BB20_69 Depth=3
	v_mul_f64 v[1:2], v[33:34], s[16:17]
	s_delay_alu instid0(VALU_DEP_1) | instskip(SKIP_3) | instid1(VALU_DEP_2)
	v_cmp_eq_f64_e32 vcc_lo, 0, v[1:2]
	v_readfirstlane_b32 s7, v2
	v_readfirstlane_b32 s8, v1
	s_and_b32 s21, vcc_lo, exec_lo
	s_cselect_b32 s88, s17, s7
	s_delay_alu instid0(VALU_DEP_1)
	s_cselect_b32 s89, s16, s8
	s_and_b32 s90, s88, 0x7fffffff
	s_mov_b32 s91, s89
	s_mov_b32 s8, s72
	s_branch .LBB20_123
.LBB20_121:                             ;   in Loop: Header=BB20_123 Depth=4
	s_delay_alu instid0(VALU_DEP_1)
	v_dual_mov_b32 v3, v39 :: v_dual_mov_b32 v4, v40
.LBB20_122:                             ;   in Loop: Header=BB20_123 Depth=4
	s_delay_alu instid0(VALU_DEP_1) | instskip(SKIP_3) | instid1(VALU_DEP_1)
	v_div_scale_f64 v[33:34], null, v[3:4], v[3:4], v[1:2]
	s_add_i32 s7, s8, -1
	s_cmp_gt_i32 s8, 0
	s_mov_b32 s8, s7
	v_rcp_f64_e32 v[35:36], v[33:34]
	s_waitcnt_depctr 0xfff
	v_fma_f64 v[37:38], -v[33:34], v[35:36], 1.0
	s_delay_alu instid0(VALU_DEP_1) | instskip(NEXT) | instid1(VALU_DEP_1)
	v_fma_f64 v[35:36], v[35:36], v[37:38], v[35:36]
	v_fma_f64 v[37:38], -v[33:34], v[35:36], 1.0
	s_delay_alu instid0(VALU_DEP_1) | instskip(SKIP_1) | instid1(VALU_DEP_1)
	v_fma_f64 v[35:36], v[35:36], v[37:38], v[35:36]
	v_div_scale_f64 v[37:38], vcc_lo, v[1:2], v[3:4], v[1:2]
	v_mul_f64 v[39:40], v[37:38], v[35:36]
	s_delay_alu instid0(VALU_DEP_1) | instskip(NEXT) | instid1(VALU_DEP_1)
	v_fma_f64 v[33:34], -v[33:34], v[39:40], v[37:38]
	v_div_fmas_f64 v[33:34], v[33:34], v[35:36], v[39:40]
	s_delay_alu instid0(VALU_DEP_1)
	v_div_fixup_f64 v[1:2], v[33:34], v[3:4], v[1:2]
	global_store_b64 v5, v[1:2], s[84:85]
	s_cbranch_scc0 .LBB20_139
.LBB20_123:                             ;   Parent Loop BB20_12 Depth=1
                                        ;     Parent Loop BB20_22 Depth=2
                                        ;       Parent Loop BB20_69 Depth=3
                                        ; =>      This Loop Header: Depth=4
                                        ;           Child Loop BB20_130 Depth 5
	s_lshl_b64 s[86:87], s[8:9], 3
	s_delay_alu instid0(SALU_CYCLE_1)
	s_add_u32 s84, s22, s86
	s_addc_u32 s85, s23, s87
	s_cmp_ge_i32 s8, s72
	global_load_b64 v[1:2], v5, s[84:85]
	s_cbranch_scc1 .LBB20_125
; %bb.124:                              ;   in Loop: Header=BB20_123 Depth=4
	s_add_u32 s92, s46, s86
	s_addc_u32 s93, s47, s87
	s_clause 0x1
	global_load_b64 v[3:4], v5, s[92:93]
	global_load_b64 v[33:34], v5, s[84:85] offset:8
	s_waitcnt vmcnt(0)
	v_fma_f64 v[1:2], -v[3:4], v[33:34], v[1:2]
.LBB20_125:                             ;   in Loop: Header=BB20_123 Depth=4
	s_cmp_ge_i32 s8, s73
	s_cbranch_scc1 .LBB20_127
; %bb.126:                              ;   in Loop: Header=BB20_123 Depth=4
	s_add_u32 s92, s44, s86
	s_addc_u32 s93, s45, s87
	s_clause 0x1
	global_load_b64 v[3:4], v5, s[92:93]
	global_load_b64 v[33:34], v5, s[84:85] offset:16
	s_waitcnt vmcnt(0)
	v_fma_f64 v[1:2], -v[3:4], v[33:34], v[1:2]
.LBB20_127:                             ;   in Loop: Header=BB20_123 Depth=4
	s_add_u32 s86, s26, s86
	s_addc_u32 s87, s27, s87
	global_load_b64 v[3:4], v5, s[86:87]
	s_waitcnt vmcnt(0)
	v_cmp_nlt_f64_e64 s7, |v[3:4]|, 1.0
	s_delay_alu instid0(VALU_DEP_1)
	s_and_b32 vcc_lo, exec_lo, s7
	s_cbranch_vccnz .LBB20_122
; %bb.128:                              ;   in Loop: Header=BB20_123 Depth=4
	v_cmp_nle_f64_e32 vcc_lo, 0, v[3:4]
	v_mul_f64 v[33:34], |v[1:2]|, s[18:19]
	s_xor_b32 s7, s90, 0x80000000
	s_and_b32 s21, s88, 0x7fffffff
	v_dual_mov_b32 v37, v3 :: v_dual_and_b32 v38, 0x7fffffff, v4
	s_and_b32 s86, vcc_lo, exec_lo
	s_cselect_b32 s87, s7, s21
	s_cselect_b32 s86, s91, s89
	s_delay_alu instid0(SALU_CYCLE_1)
	v_dual_mov_b32 v35, s86 :: v_dual_mov_b32 v36, s87
	s_branch .LBB20_130
	.p2align	6
.LBB20_129:                             ;   in Loop: Header=BB20_130 Depth=5
	v_add_f64 v[39:40], v[3:4], v[35:36]
	v_add_f64 v[35:36], v[35:36], v[35:36]
	v_dual_mov_b32 v42, v4 :: v_dual_mov_b32 v41, v3
	s_mov_b32 s7, -1
	s_delay_alu instid0(VALU_DEP_3) | instskip(SKIP_2) | instid1(VALU_DEP_3)
	v_cmp_nlt_f64_e64 s21, |v[39:40]|, 1.0
	v_dual_mov_b32 v37, v39 :: v_dual_and_b32 v38, 0x7fffffff, v40
	v_dual_mov_b32 v3, v39 :: v_dual_mov_b32 v4, v40
	s_and_not1_b32 vcc_lo, exec_lo, s21
	s_cbranch_vccz .LBB20_137
.LBB20_130:                             ;   Parent Loop BB20_12 Depth=1
                                        ;     Parent Loop BB20_22 Depth=2
                                        ;       Parent Loop BB20_69 Depth=3
                                        ;         Parent Loop BB20_123 Depth=4
                                        ; =>        This Inner Loop Header: Depth=5
	s_delay_alu instid0(VALU_DEP_2)
	v_cmp_ngt_f64_e32 vcc_lo, s[18:19], v[37:38]
	s_cbranch_vccz .LBB20_132
; %bb.131:                              ;   in Loop: Header=BB20_130 Depth=5
	v_mul_f64 v[39:40], v[13:14], v[37:38]
	s_mov_b32 s86, 0
	s_mov_b32 s7, -1
	s_delay_alu instid0(VALU_DEP_1)
	v_cmp_gt_f64_e64 s21, |v[1:2]|, v[39:40]
	s_branch .LBB20_133
.LBB20_132:                             ;   in Loop: Header=BB20_130 Depth=5
	s_mov_b32 s86, -1
	s_mov_b32 s21, 0
                                        ; implicit-def: $sgpr7
.LBB20_133:                             ;   in Loop: Header=BB20_130 Depth=5
	v_dual_mov_b32 v40, v4 :: v_dual_mov_b32 v39, v3
	v_dual_mov_b32 v42, v4 :: v_dual_mov_b32 v41, v3
	s_and_not1_b32 vcc_lo, exec_lo, s86
	s_cbranch_vccnz .LBB20_135
; %bb.134:                              ;   in Loop: Header=BB20_130 Depth=5
	v_cmp_eq_f64_e32 vcc_lo, 0, v[3:4]
	v_cmp_gt_f64_e64 s7, v[33:34], v[37:38]
	v_dual_mov_b32 v42, v4 :: v_dual_mov_b32 v41, v3
                                        ; implicit-def: $vgpr39_vgpr40
	s_delay_alu instid0(VALU_DEP_2)
	s_or_b32 s21, vcc_lo, s7
	s_mov_b32 s7, 0
.LBB20_135:                             ;   in Loop: Header=BB20_130 Depth=5
	s_delay_alu instid0(VALU_DEP_3)
	s_and_not1_b32 vcc_lo, exec_lo, s21
	s_cbranch_vccz .LBB20_129
; %bb.136:                              ;   in Loop: Header=BB20_123 Depth=4
                                        ; implicit-def: $vgpr35_vgpr36
                                        ; implicit-def: $vgpr37_vgpr38
	v_dual_mov_b32 v3, v39 :: v_dual_mov_b32 v4, v40
.LBB20_137:                             ;   in Loop: Header=BB20_123 Depth=4
	s_and_not1_b32 vcc_lo, exec_lo, s7
	s_cbranch_vccz .LBB20_121
; %bb.138:                              ;   in Loop: Header=BB20_123 Depth=4
	v_mul_f64 v[1:2], v[13:14], v[1:2]
	v_mul_f64 v[39:40], v[13:14], v[41:42]
	s_branch .LBB20_121
.LBB20_139:                             ;   in Loop: Header=BB20_69 Depth=3
	s_or_b32 exec_lo, exec_lo, s97
	s_delay_alu instid0(SALU_CYCLE_1)
	s_and_not1_b32 vcc_lo, exec_lo, s83
	s_waitcnt_vscnt null, 0x0
	s_barrier
	buffer_gl0_inv
	s_cbranch_vccnz .LBB20_149
; %bb.140:                              ;   in Loop: Header=BB20_69 Depth=3
	s_and_b32 s7, s94, exec_lo
	s_cselect_b32 s7, s82, s63
	s_mov_b32 s63, s82
	s_cmp_eq_u32 s7, s82
	s_cbranch_scc1 .LBB20_149
; %bb.141:                              ;   in Loop: Header=BB20_69 Depth=3
	s_cmp_lt_i32 s7, s82
	s_cselect_b32 s8, -1, 0
	s_delay_alu instid0(SALU_CYCLE_1) | instskip(NEXT) | instid1(SALU_CYCLE_1)
	s_and_b32 s21, s2, s8
	s_and_saveexec_b32 s8, s21
	s_cbranch_execz .LBB20_148
; %bb.142:                              ;   in Loop: Header=BB20_69 Depth=3
	s_mul_i32 s21, s25, s7
	s_mov_b32 s63, s7
	s_add_i32 s21, s68, s21
	s_set_inst_prefetch_distance 0x1
	.p2align	6
.LBB20_143:                             ;   Parent Loop BB20_12 Depth=1
                                        ;     Parent Loop BB20_22 Depth=2
                                        ;       Parent Loop BB20_69 Depth=3
                                        ; =>      This Loop Header: Depth=4
                                        ;           Child Loop BB20_144 Depth 5
                                        ;           Child Loop BB20_146 Depth 5
	v_mov_b32_e32 v1, 0
	v_mov_b32_e32 v2, 0
	s_mov_b64 s[84:85], s[22:23]
	s_mov_b32 s86, s21
	s_mov_b32 s88, s29
.LBB20_144:                             ;   Parent Loop BB20_12 Depth=1
                                        ;     Parent Loop BB20_22 Depth=2
                                        ;       Parent Loop BB20_69 Depth=3
                                        ;         Parent Loop BB20_143 Depth=4
                                        ; =>        This Inner Loop Header: Depth=5
	s_ashr_i32 s87, s86, 31
	s_delay_alu instid0(SALU_CYCLE_1) | instskip(NEXT) | instid1(SALU_CYCLE_1)
	s_lshl_b64 s[90:91], s[86:87], 3
	s_add_u32 s90, s24, s90
	s_addc_u32 s91, s60, s91
	s_clause 0x1
	global_load_b64 v[3:4], v5, s[84:85]
	global_load_b64 v[33:34], v5, s[90:91]
	s_add_i32 s88, s88, -1
	s_add_i32 s86, s86, 1
	s_add_u32 s84, s84, 8
	s_addc_u32 s85, s85, 0
	s_cmp_lg_u32 s88, 0
	s_waitcnt vmcnt(0)
	v_fma_f64 v[1:2], v[3:4], v[33:34], v[1:2]
	s_cbranch_scc1 .LBB20_144
; %bb.145:                              ;   in Loop: Header=BB20_143 Depth=4
	s_mov_b32 s86, 0
	s_mov_b64 s[84:85], s[22:23]
	.p2align	6
.LBB20_146:                             ;   Parent Loop BB20_12 Depth=1
                                        ;     Parent Loop BB20_22 Depth=2
                                        ;       Parent Loop BB20_69 Depth=3
                                        ;         Parent Loop BB20_143 Depth=4
                                        ; =>        This Inner Loop Header: Depth=5
	s_add_i32 s88, s21, s86
	global_load_b64 v[3:4], v5, s[84:85]
	s_ashr_i32 s89, s88, 31
	s_delay_alu instid0(SALU_CYCLE_1) | instskip(NEXT) | instid1(SALU_CYCLE_1)
	s_lshl_b64 s[88:89], s[88:89], 3
	s_add_u32 s88, s24, s88
	s_addc_u32 s89, s60, s89
	s_add_i32 s86, s86, 1
	global_load_b64 v[33:34], v5, s[88:89]
	s_waitcnt vmcnt(0)
	v_fma_f64 v[3:4], -v[1:2], v[33:34], v[3:4]
	global_store_b64 v5, v[3:4], s[84:85]
	s_add_u32 s84, s84, 8
	s_addc_u32 s85, s85, 0
	s_cmp_lg_u32 s29, s86
	s_cbranch_scc1 .LBB20_146
; %bb.147:                              ;   in Loop: Header=BB20_143 Depth=4
	s_add_i32 s63, s63, 1
	s_add_i32 s21, s21, s25
	s_cmp_lt_i32 s63, s82
	s_cbranch_scc1 .LBB20_143
.LBB20_148:                             ;   in Loop: Header=BB20_69 Depth=3
	s_set_inst_prefetch_distance 0x2
	s_or_b32 exec_lo, exec_lo, s8
	s_mov_b32 s63, s7
	s_waitcnt_vscnt null, 0x0
	s_barrier
	buffer_gl0_inv
.LBB20_149:                             ;   in Loop: Header=BB20_69 Depth=3
	v_mov_b32_e32 v1, 0
	v_mov_b32_e32 v2, 0
	v_bfrev_b32_e32 v6, -2
	s_and_saveexec_b32 s8, s5
	s_cbranch_execz .LBB20_153
; %bb.150:                              ;   in Loop: Header=BB20_69 Depth=3
	v_mov_b32_e32 v1, 0
	v_dual_mov_b32 v2, 0 :: v_dual_mov_b32 v3, v9
	v_bfrev_b32_e32 v6, -2
	v_dual_mov_b32 v4, v10 :: v_dual_mov_b32 v33, v0
	s_mov_b32 s21, 0
	.p2align	6
.LBB20_151:                             ;   Parent Loop BB20_12 Depth=1
                                        ;     Parent Loop BB20_22 Depth=2
                                        ;       Parent Loop BB20_69 Depth=3
                                        ; =>      This Inner Loop Header: Depth=4
	global_load_b64 v[34:35], v[3:4], off
	v_cmp_eq_u32_e32 vcc_lo, 0x7fffffff, v6
	v_add_co_u32 v3, s7, 0x800, v3
	s_delay_alu instid0(VALU_DEP_1) | instskip(SKIP_2) | instid1(VALU_DEP_1)
	v_add_co_ci_u32_e64 v4, s7, 0, v4, s7
	s_waitcnt vmcnt(0)
	v_cmp_lt_f64_e64 s84, v[1:2], |v[34:35]|
	s_or_b32 vcc_lo, s84, vcc_lo
	v_dual_cndmask_b32 v1, v1, v34 :: v_dual_add_nc_u32 v36, 1, v33
	s_delay_alu instid0(VALU_DEP_1) | instskip(NEXT) | instid1(VALU_DEP_1)
	v_dual_cndmask_b32 v6, v6, v36 :: v_dual_and_b32 v35, 0x7fffffff, v35
	v_dual_cndmask_b32 v2, v2, v35 :: v_dual_add_nc_u32 v33, 0x100, v33
	s_delay_alu instid0(VALU_DEP_1) | instskip(NEXT) | instid1(VALU_DEP_1)
	v_cmp_lt_i32_e64 s7, s72, v33
	s_or_b32 s21, s7, s21
	s_delay_alu instid0(SALU_CYCLE_1)
	s_and_not1_b32 exec_lo, exec_lo, s21
	s_cbranch_execnz .LBB20_151
; %bb.152:                              ;   in Loop: Header=BB20_69 Depth=3
	s_or_b32 exec_lo, exec_lo, s21
.LBB20_153:                             ;   in Loop: Header=BB20_69 Depth=3
	s_delay_alu instid0(SALU_CYCLE_1)
	s_or_b32 exec_lo, exec_lo, s8
	ds_store_b64 v49, v[1:2]
	ds_store_b32 v50, v6 offset:4096
	s_waitcnt lgkmcnt(0)
	s_barrier
	buffer_gl0_inv
	s_and_saveexec_b32 s8, s0
	s_cbranch_execz .LBB20_159
; %bb.154:                              ;   in Loop: Header=BB20_69 Depth=3
	v_add_nc_u32_e32 v3, v50, v47
	s_mov_b32 s84, exec_lo
	ds_load_b32 v33, v48 offset:512
	ds_load_b64 v[3:4], v3 offset:1024
	s_waitcnt lgkmcnt(0)
	v_cmp_lt_f64_e64 s21, v[1:2], v[3:4]
	v_cmpx_nlt_f64_e32 v[1:2], v[3:4]
; %bb.155:                              ;   in Loop: Header=BB20_69 Depth=3
	v_cmp_eq_f64_e32 vcc_lo, v[1:2], v[3:4]
	v_cmp_gt_i32_e64 s7, v6, v33
	s_delay_alu instid0(VALU_DEP_4) | instskip(NEXT) | instid1(VALU_DEP_1)
	s_and_not1_b32 s21, s21, exec_lo
	s_and_b32 s7, vcc_lo, s7
	s_delay_alu instid0(SALU_CYCLE_1) | instskip(NEXT) | instid1(SALU_CYCLE_1)
	s_and_b32 s7, s7, exec_lo
	s_or_b32 s21, s21, s7
; %bb.156:                              ;   in Loop: Header=BB20_69 Depth=3
	s_or_b32 exec_lo, exec_lo, s84
	s_and_saveexec_b32 s7, s21
	s_cbranch_execz .LBB20_158
; %bb.157:                              ;   in Loop: Header=BB20_69 Depth=3
	v_dual_mov_b32 v6, v33 :: v_dual_mov_b32 v1, v3
	v_mov_b32_e32 v2, v4
	ds_store_b64 v49, v[3:4]
	ds_store_b32 v50, v33 offset:4096
.LBB20_158:                             ;   in Loop: Header=BB20_69 Depth=3
	s_or_b32 exec_lo, exec_lo, s7
.LBB20_159:                             ;   in Loop: Header=BB20_69 Depth=3
	s_delay_alu instid0(SALU_CYCLE_1)
	s_or_b32 exec_lo, exec_lo, s8
	s_waitcnt lgkmcnt(0)
	s_barrier
	buffer_gl0_inv
	s_and_saveexec_b32 s8, s1
	s_cbranch_execz .LBB20_165
; %bb.160:                              ;   in Loop: Header=BB20_69 Depth=3
	v_add_nc_u32_e32 v3, v50, v47
	s_mov_b32 s84, exec_lo
	ds_load_b32 v33, v48 offset:256
	ds_load_b64 v[3:4], v3 offset:512
	s_waitcnt lgkmcnt(0)
	v_cmp_lt_f64_e64 s21, v[1:2], v[3:4]
	v_cmpx_nlt_f64_e32 v[1:2], v[3:4]
; %bb.161:                              ;   in Loop: Header=BB20_69 Depth=3
	v_cmp_eq_f64_e32 vcc_lo, v[1:2], v[3:4]
	v_cmp_gt_i32_e64 s7, v6, v33
	s_delay_alu instid0(VALU_DEP_4) | instskip(NEXT) | instid1(VALU_DEP_1)
	s_and_not1_b32 s21, s21, exec_lo
	s_and_b32 s7, vcc_lo, s7
	s_delay_alu instid0(SALU_CYCLE_1) | instskip(NEXT) | instid1(SALU_CYCLE_1)
	s_and_b32 s7, s7, exec_lo
	s_or_b32 s21, s21, s7
; %bb.162:                              ;   in Loop: Header=BB20_69 Depth=3
	s_or_b32 exec_lo, exec_lo, s84
	s_and_saveexec_b32 s7, s21
	s_cbranch_execz .LBB20_164
; %bb.163:                              ;   in Loop: Header=BB20_69 Depth=3
	v_dual_mov_b32 v6, v33 :: v_dual_mov_b32 v1, v3
	v_mov_b32_e32 v2, v4
	ds_store_b64 v49, v[3:4]
	ds_store_b32 v50, v33 offset:4096
.LBB20_164:                             ;   in Loop: Header=BB20_69 Depth=3
	s_or_b32 exec_lo, exec_lo, s7
.LBB20_165:                             ;   in Loop: Header=BB20_69 Depth=3
	s_delay_alu instid0(SALU_CYCLE_1)
	s_or_b32 exec_lo, exec_lo, s8
	s_waitcnt lgkmcnt(0)
	s_barrier
	buffer_gl0_inv
	s_and_saveexec_b32 s84, s3
	s_cbranch_execz .LBB20_188
; %bb.166:                              ;   in Loop: Header=BB20_69 Depth=3
	v_add_nc_u32_e32 v33, v50, v47
	s_mov_b32 s21, exec_lo
	ds_load_b32 v34, v48 offset:128
	ds_load_b64 v[3:4], v33 offset:256
	s_waitcnt lgkmcnt(0)
	v_cmp_lt_f64_e64 s8, v[1:2], v[3:4]
	v_cmpx_nlt_f64_e32 v[1:2], v[3:4]
; %bb.167:                              ;   in Loop: Header=BB20_69 Depth=3
	v_cmp_eq_f64_e32 vcc_lo, v[1:2], v[3:4]
	v_cmp_gt_i32_e64 s7, v6, v34
	s_delay_alu instid0(VALU_DEP_4) | instskip(NEXT) | instid1(VALU_DEP_1)
	s_and_not1_b32 s8, s8, exec_lo
	s_and_b32 s7, vcc_lo, s7
	s_delay_alu instid0(SALU_CYCLE_1) | instskip(NEXT) | instid1(SALU_CYCLE_1)
	s_and_b32 s7, s7, exec_lo
	s_or_b32 s8, s8, s7
; %bb.168:                              ;   in Loop: Header=BB20_69 Depth=3
	s_or_b32 exec_lo, exec_lo, s21
	s_and_saveexec_b32 s7, s8
	s_cbranch_execz .LBB20_170
; %bb.169:                              ;   in Loop: Header=BB20_69 Depth=3
	v_dual_mov_b32 v1, v3 :: v_dual_mov_b32 v2, v4
	v_mov_b32_e32 v6, v34
	ds_store_b64 v49, v[3:4]
	ds_store_b32 v50, v34 offset:4096
.LBB20_170:                             ;   in Loop: Header=BB20_69 Depth=3
	s_or_b32 exec_lo, exec_lo, s7
	ds_load_b64 v[3:4], v33 offset:128
	ds_load_b32 v34, v48 offset:64
	s_mov_b32 s21, exec_lo
	s_waitcnt lgkmcnt(1)
	v_cmp_lt_f64_e64 s8, v[1:2], v[3:4]
	v_cmpx_nlt_f64_e32 v[1:2], v[3:4]
	s_cbranch_execz .LBB20_172
; %bb.171:                              ;   in Loop: Header=BB20_69 Depth=3
	v_cmp_eq_f64_e32 vcc_lo, v[1:2], v[3:4]
	s_waitcnt lgkmcnt(0)
	v_cmp_gt_i32_e64 s7, v6, v34
	s_delay_alu instid0(VALU_DEP_4) | instskip(NEXT) | instid1(VALU_DEP_1)
	s_and_not1_b32 s8, s8, exec_lo
	s_and_b32 s7, vcc_lo, s7
	s_delay_alu instid0(SALU_CYCLE_1) | instskip(NEXT) | instid1(SALU_CYCLE_1)
	s_and_b32 s7, s7, exec_lo
	s_or_b32 s8, s8, s7
.LBB20_172:                             ;   in Loop: Header=BB20_69 Depth=3
	s_or_b32 exec_lo, exec_lo, s21
	s_delay_alu instid0(VALU_DEP_2)
	s_and_saveexec_b32 s7, s8
	s_cbranch_execz .LBB20_174
; %bb.173:                              ;   in Loop: Header=BB20_69 Depth=3
	v_dual_mov_b32 v1, v3 :: v_dual_mov_b32 v2, v4
	s_waitcnt lgkmcnt(0)
	v_mov_b32_e32 v6, v34
	ds_store_b64 v49, v[3:4]
	ds_store_b32 v50, v34 offset:4096
.LBB20_174:                             ;   in Loop: Header=BB20_69 Depth=3
	s_or_b32 exec_lo, exec_lo, s7
	ds_load_b64 v[3:4], v33 offset:64
	s_waitcnt lgkmcnt(1)
	ds_load_b32 v34, v48 offset:32
	s_mov_b32 s21, exec_lo
	s_waitcnt lgkmcnt(1)
	v_cmp_lt_f64_e64 s8, v[1:2], v[3:4]
	v_cmpx_nlt_f64_e32 v[1:2], v[3:4]
	s_cbranch_execz .LBB20_176
; %bb.175:                              ;   in Loop: Header=BB20_69 Depth=3
	v_cmp_eq_f64_e32 vcc_lo, v[1:2], v[3:4]
	s_waitcnt lgkmcnt(0)
	v_cmp_gt_i32_e64 s7, v6, v34
	s_delay_alu instid0(VALU_DEP_4) | instskip(NEXT) | instid1(VALU_DEP_1)
	s_and_not1_b32 s8, s8, exec_lo
	s_and_b32 s7, vcc_lo, s7
	s_delay_alu instid0(SALU_CYCLE_1) | instskip(NEXT) | instid1(SALU_CYCLE_1)
	s_and_b32 s7, s7, exec_lo
	s_or_b32 s8, s8, s7
.LBB20_176:                             ;   in Loop: Header=BB20_69 Depth=3
	s_or_b32 exec_lo, exec_lo, s21
	s_delay_alu instid0(VALU_DEP_2)
	s_and_saveexec_b32 s7, s8
	s_cbranch_execz .LBB20_178
; %bb.177:                              ;   in Loop: Header=BB20_69 Depth=3
	v_dual_mov_b32 v1, v3 :: v_dual_mov_b32 v2, v4
	s_waitcnt lgkmcnt(0)
	v_mov_b32_e32 v6, v34
	ds_store_b64 v49, v[3:4]
	ds_store_b32 v50, v34 offset:4096
.LBB20_178:                             ;   in Loop: Header=BB20_69 Depth=3
	s_or_b32 exec_lo, exec_lo, s7
	ds_load_b64 v[3:4], v33 offset:32
	s_waitcnt lgkmcnt(1)
	;; [unrolled: 31-line block ×4, first 2 shown]
	v_cmp_eq_f64_e32 vcc_lo, v[1:2], v[3:4]
	v_cmp_lt_f64_e64 s7, v[1:2], v[3:4]
	ds_load_b32 v1, v48 offset:4
	s_waitcnt lgkmcnt(0)
	v_cmp_gt_i32_e64 s8, v6, v1
	s_delay_alu instid0(VALU_DEP_1) | instskip(NEXT) | instid1(SALU_CYCLE_1)
	s_and_b32 s8, vcc_lo, s8
	s_or_b32 s7, s7, s8
	s_delay_alu instid0(SALU_CYCLE_1)
	s_and_b32 exec_lo, exec_lo, s7
	s_cbranch_execz .LBB20_188
; %bb.187:                              ;   in Loop: Header=BB20_69 Depth=3
	ds_store_b64 v49, v[3:4]
	ds_store_b32 v50, v1 offset:4096
.LBB20_188:                             ;   in Loop: Header=BB20_69 Depth=3
	s_or_b32 exec_lo, exec_lo, s84
	s_waitcnt lgkmcnt(0)
	s_barrier
	buffer_gl0_inv
	ds_load_b64 v[1:2], v53
	s_waitcnt lgkmcnt(0)
	v_cmp_ge_f64_e32 vcc_lo, v[1:2], v[21:22]
	s_cmp_lg_u32 vcc_lo, 0
	s_addc_u32 s95, s95, 0
	s_add_i32 s7, s96, 1
	s_cmp_lt_u32 s96, 4
	s_cselect_b32 s21, -1, 0
	s_cmp_lt_u32 s95, 2
	s_cselect_b32 s8, -1, 0
	s_delay_alu instid0(SALU_CYCLE_1) | instskip(NEXT) | instid1(SALU_CYCLE_1)
	s_and_b32 s21, s21, s8
	s_and_b32 vcc_lo, exec_lo, s21
	s_cbranch_vccz .LBB20_190
; %bb.189:                              ;   in Loop: Header=BB20_69 Depth=3
	s_mov_b32 s96, s7
	s_branch .LBB20_69
.LBB20_190:                             ;   in Loop: Header=BB20_22 Depth=2
	s_and_b32 s8, s61, s8
	s_delay_alu instid0(SALU_CYCLE_1)
	s_and_saveexec_b32 s7, s8
	s_cbranch_execz .LBB20_192
; %bb.191:                              ;   in Loop: Header=BB20_22 Depth=2
	ds_load_b32 v1, v5
	s_add_i32 s8, s82, 1
	s_delay_alu instid0(SALU_CYCLE_1) | instskip(SKIP_2) | instid1(VALU_DEP_1)
	v_mov_b32_e32 v4, s8
	s_waitcnt lgkmcnt(0)
	v_ashrrev_i32_e32 v2, 31, v1
	v_lshlrev_b64 v[2:3], 2, v[1:2]
	v_add_nc_u32_e32 v1, 1, v1
	s_delay_alu instid0(VALU_DEP_2) | instskip(NEXT) | instid1(VALU_DEP_3)
	v_add_co_u32 v2, vcc_lo, s34, v2
	v_add_co_ci_u32_e32 v3, vcc_lo, s35, v3, vcc_lo
	flat_store_b32 v[2:3], v4
	ds_store_b32 v5, v1
.LBB20_192:                             ;   in Loop: Header=BB20_22 Depth=2
	s_or_b32 exec_lo, exec_lo, s7
	v_mov_b32_e32 v1, 0
	v_mov_b32_e32 v2, 0
	v_bfrev_b32_e32 v33, -2
	s_and_saveexec_b32 s8, s5
	s_cbranch_execz .LBB20_196
; %bb.193:                              ;   in Loop: Header=BB20_22 Depth=2
	v_mov_b32_e32 v1, 0
	v_dual_mov_b32 v2, 0 :: v_dual_mov_b32 v3, v9
	v_bfrev_b32_e32 v33, -2
	v_mov_b32_e32 v4, v10
	v_mov_b32_e32 v6, v0
	s_mov_b32 s21, 0
	.p2align	6
.LBB20_194:                             ;   Parent Loop BB20_12 Depth=1
                                        ;     Parent Loop BB20_22 Depth=2
                                        ; =>    This Inner Loop Header: Depth=3
	global_load_b64 v[34:35], v[3:4], off
	v_cmp_eq_u32_e32 vcc_lo, 0x7fffffff, v33
	v_add_nc_u32_e32 v36, 1, v6
	v_add_co_u32 v3, s7, 0x800, v3
	s_delay_alu instid0(VALU_DEP_1) | instskip(SKIP_3) | instid1(VALU_DEP_2)
	v_add_co_ci_u32_e64 v4, s7, 0, v4, s7
	s_waitcnt vmcnt(0)
	v_cmp_lt_f64_e64 s83, v[1:2], |v[34:35]|
	v_and_b32_e32 v35, 0x7fffffff, v35
	s_or_b32 vcc_lo, s83, vcc_lo
	v_dual_cndmask_b32 v33, v33, v36 :: v_dual_add_nc_u32 v6, 0x100, v6
	s_delay_alu instid0(VALU_DEP_2) | instskip(NEXT) | instid1(VALU_DEP_2)
	v_dual_cndmask_b32 v2, v2, v35 :: v_dual_cndmask_b32 v1, v1, v34
	v_cmp_lt_i32_e64 s7, s72, v6
	s_delay_alu instid0(VALU_DEP_1) | instskip(NEXT) | instid1(SALU_CYCLE_1)
	s_or_b32 s21, s7, s21
	s_and_not1_b32 exec_lo, exec_lo, s21
	s_cbranch_execnz .LBB20_194
; %bb.195:                              ;   in Loop: Header=BB20_22 Depth=2
	s_or_b32 exec_lo, exec_lo, s21
.LBB20_196:                             ;   in Loop: Header=BB20_22 Depth=2
	s_delay_alu instid0(SALU_CYCLE_1)
	s_or_b32 exec_lo, exec_lo, s8
	v_add_nc_u32_e32 v6, v50, v47
	ds_store_b64 v49, v[1:2]
	ds_store_b32 v50, v33 offset:4096
	s_waitcnt lgkmcnt(0)
	s_waitcnt_vscnt null, 0x0
	s_barrier
	buffer_gl0_inv
	s_and_saveexec_b32 s8, s0
	s_cbranch_execz .LBB20_202
; %bb.197:                              ;   in Loop: Header=BB20_22 Depth=2
	ds_load_b64 v[3:4], v6 offset:1024
	ds_load_b32 v34, v48 offset:512
	s_mov_b32 s83, exec_lo
	s_waitcnt lgkmcnt(1)
	v_cmp_lt_f64_e64 s21, v[1:2], v[3:4]
	v_cmpx_nlt_f64_e32 v[1:2], v[3:4]
	s_cbranch_execz .LBB20_199
; %bb.198:                              ;   in Loop: Header=BB20_22 Depth=2
	v_cmp_eq_f64_e32 vcc_lo, v[1:2], v[3:4]
	s_waitcnt lgkmcnt(0)
	v_cmp_gt_i32_e64 s7, v33, v34
	s_delay_alu instid0(VALU_DEP_4) | instskip(NEXT) | instid1(VALU_DEP_1)
	s_and_not1_b32 s21, s21, exec_lo
	s_and_b32 s7, vcc_lo, s7
	s_delay_alu instid0(SALU_CYCLE_1) | instskip(NEXT) | instid1(SALU_CYCLE_1)
	s_and_b32 s7, s7, exec_lo
	s_or_b32 s21, s21, s7
.LBB20_199:                             ;   in Loop: Header=BB20_22 Depth=2
	s_or_b32 exec_lo, exec_lo, s83
	s_delay_alu instid0(VALU_DEP_2)
	s_and_saveexec_b32 s7, s21
	s_cbranch_execz .LBB20_201
; %bb.200:                              ;   in Loop: Header=BB20_22 Depth=2
	v_mov_b32_e32 v1, v3
	s_waitcnt lgkmcnt(0)
	v_dual_mov_b32 v33, v34 :: v_dual_mov_b32 v2, v4
	ds_store_b64 v49, v[3:4]
	ds_store_b32 v50, v34 offset:4096
.LBB20_201:                             ;   in Loop: Header=BB20_22 Depth=2
	s_or_b32 exec_lo, exec_lo, s7
.LBB20_202:                             ;   in Loop: Header=BB20_22 Depth=2
	s_delay_alu instid0(SALU_CYCLE_1)
	s_or_b32 exec_lo, exec_lo, s8
	s_waitcnt lgkmcnt(0)
	s_barrier
	buffer_gl0_inv
	s_and_saveexec_b32 s8, s1
	s_cbranch_execz .LBB20_208
; %bb.203:                              ;   in Loop: Header=BB20_22 Depth=2
	ds_load_b64 v[3:4], v6 offset:512
	ds_load_b32 v34, v48 offset:256
	s_mov_b32 s83, exec_lo
	s_waitcnt lgkmcnt(1)
	v_cmp_lt_f64_e64 s21, v[1:2], v[3:4]
	v_cmpx_nlt_f64_e32 v[1:2], v[3:4]
	s_cbranch_execz .LBB20_205
; %bb.204:                              ;   in Loop: Header=BB20_22 Depth=2
	v_cmp_eq_f64_e32 vcc_lo, v[1:2], v[3:4]
	s_waitcnt lgkmcnt(0)
	v_cmp_gt_i32_e64 s7, v33, v34
	s_delay_alu instid0(VALU_DEP_4) | instskip(NEXT) | instid1(VALU_DEP_1)
	s_and_not1_b32 s21, s21, exec_lo
	s_and_b32 s7, vcc_lo, s7
	s_delay_alu instid0(SALU_CYCLE_1) | instskip(NEXT) | instid1(SALU_CYCLE_1)
	s_and_b32 s7, s7, exec_lo
	s_or_b32 s21, s21, s7
.LBB20_205:                             ;   in Loop: Header=BB20_22 Depth=2
	s_or_b32 exec_lo, exec_lo, s83
	s_delay_alu instid0(VALU_DEP_2)
	s_and_saveexec_b32 s7, s21
	s_cbranch_execz .LBB20_207
; %bb.206:                              ;   in Loop: Header=BB20_22 Depth=2
	v_mov_b32_e32 v1, v3
	s_waitcnt lgkmcnt(0)
	v_dual_mov_b32 v33, v34 :: v_dual_mov_b32 v2, v4
	ds_store_b64 v49, v[3:4]
	ds_store_b32 v50, v34 offset:4096
.LBB20_207:                             ;   in Loop: Header=BB20_22 Depth=2
	s_or_b32 exec_lo, exec_lo, s7
.LBB20_208:                             ;   in Loop: Header=BB20_22 Depth=2
	s_delay_alu instid0(SALU_CYCLE_1)
	s_or_b32 exec_lo, exec_lo, s8
	s_waitcnt lgkmcnt(0)
	s_barrier
	buffer_gl0_inv
	s_and_saveexec_b32 s83, s3
	s_cbranch_execz .LBB20_231
; %bb.209:                              ;   in Loop: Header=BB20_22 Depth=2
	ds_load_b64 v[3:4], v6 offset:256
	ds_load_b32 v34, v48 offset:128
	s_mov_b32 s21, exec_lo
	s_waitcnt lgkmcnt(1)
	v_cmp_lt_f64_e64 s8, v[1:2], v[3:4]
	v_cmpx_nlt_f64_e32 v[1:2], v[3:4]
	s_cbranch_execz .LBB20_211
; %bb.210:                              ;   in Loop: Header=BB20_22 Depth=2
	v_cmp_eq_f64_e32 vcc_lo, v[1:2], v[3:4]
	s_waitcnt lgkmcnt(0)
	v_cmp_gt_i32_e64 s7, v33, v34
	s_delay_alu instid0(VALU_DEP_4) | instskip(NEXT) | instid1(VALU_DEP_1)
	s_and_not1_b32 s8, s8, exec_lo
	s_and_b32 s7, vcc_lo, s7
	s_delay_alu instid0(SALU_CYCLE_1) | instskip(NEXT) | instid1(SALU_CYCLE_1)
	s_and_b32 s7, s7, exec_lo
	s_or_b32 s8, s8, s7
.LBB20_211:                             ;   in Loop: Header=BB20_22 Depth=2
	s_or_b32 exec_lo, exec_lo, s21
	s_delay_alu instid0(VALU_DEP_2)
	s_and_saveexec_b32 s7, s8
	s_cbranch_execz .LBB20_213
; %bb.212:                              ;   in Loop: Header=BB20_22 Depth=2
	v_dual_mov_b32 v1, v3 :: v_dual_mov_b32 v2, v4
	s_waitcnt lgkmcnt(0)
	v_mov_b32_e32 v33, v34
	ds_store_b64 v49, v[3:4]
	ds_store_b32 v50, v34 offset:4096
.LBB20_213:                             ;   in Loop: Header=BB20_22 Depth=2
	s_or_b32 exec_lo, exec_lo, s7
	ds_load_b64 v[3:4], v6 offset:128
	s_waitcnt lgkmcnt(1)
	ds_load_b32 v34, v48 offset:64
	s_mov_b32 s21, exec_lo
	s_waitcnt lgkmcnt(1)
	v_cmp_lt_f64_e64 s8, v[1:2], v[3:4]
	v_cmpx_nlt_f64_e32 v[1:2], v[3:4]
	s_cbranch_execz .LBB20_215
; %bb.214:                              ;   in Loop: Header=BB20_22 Depth=2
	v_cmp_eq_f64_e32 vcc_lo, v[1:2], v[3:4]
	s_waitcnt lgkmcnt(0)
	v_cmp_gt_i32_e64 s7, v33, v34
	s_delay_alu instid0(VALU_DEP_4) | instskip(NEXT) | instid1(VALU_DEP_1)
	s_and_not1_b32 s8, s8, exec_lo
	s_and_b32 s7, vcc_lo, s7
	s_delay_alu instid0(SALU_CYCLE_1) | instskip(NEXT) | instid1(SALU_CYCLE_1)
	s_and_b32 s7, s7, exec_lo
	s_or_b32 s8, s8, s7
.LBB20_215:                             ;   in Loop: Header=BB20_22 Depth=2
	s_or_b32 exec_lo, exec_lo, s21
	s_delay_alu instid0(VALU_DEP_2)
	s_and_saveexec_b32 s7, s8
	s_cbranch_execz .LBB20_217
; %bb.216:                              ;   in Loop: Header=BB20_22 Depth=2
	v_dual_mov_b32 v1, v3 :: v_dual_mov_b32 v2, v4
	s_waitcnt lgkmcnt(0)
	v_mov_b32_e32 v33, v34
	ds_store_b64 v49, v[3:4]
	ds_store_b32 v50, v34 offset:4096
.LBB20_217:                             ;   in Loop: Header=BB20_22 Depth=2
	s_or_b32 exec_lo, exec_lo, s7
	ds_load_b64 v[3:4], v6 offset:64
	s_waitcnt lgkmcnt(1)
	;; [unrolled: 31-line block ×5, first 2 shown]
	v_cmp_eq_f64_e32 vcc_lo, v[1:2], v[3:4]
	v_cmp_lt_f64_e64 s7, v[1:2], v[3:4]
	ds_load_b32 v1, v48 offset:4
	s_waitcnt lgkmcnt(0)
	v_cmp_gt_i32_e64 s8, v33, v1
	s_delay_alu instid0(VALU_DEP_1) | instskip(NEXT) | instid1(SALU_CYCLE_1)
	s_and_b32 s8, vcc_lo, s8
	s_or_b32 s7, s7, s8
	s_delay_alu instid0(SALU_CYCLE_1)
	s_and_b32 exec_lo, exec_lo, s7
	s_cbranch_execz .LBB20_231
; %bb.230:                              ;   in Loop: Header=BB20_22 Depth=2
	ds_store_b64 v49, v[3:4]
	ds_store_b32 v50, v1 offset:4096
.LBB20_231:                             ;   in Loop: Header=BB20_22 Depth=2
	s_or_b32 exec_lo, exec_lo, s83
	v_mov_b32_e32 v1, 0
	v_mov_b32_e32 v2, 0
	s_and_saveexec_b32 s8, s5
	s_cbranch_execz .LBB20_235
; %bb.232:                              ;   in Loop: Header=BB20_22 Depth=2
	v_mov_b32_e32 v1, 0
	v_dual_mov_b32 v2, 0 :: v_dual_mov_b32 v3, v9
	v_dual_mov_b32 v4, v10 :: v_dual_mov_b32 v33, v0
	s_mov_b32 s21, 0
.LBB20_233:                             ;   Parent Loop BB20_12 Depth=1
                                        ;     Parent Loop BB20_22 Depth=2
                                        ; =>    This Inner Loop Header: Depth=3
	global_load_b64 v[34:35], v[3:4], off
	v_add_nc_u32_e32 v33, 0x100, v33
	v_add_co_u32 v3, s7, 0x800, v3
	s_delay_alu instid0(VALU_DEP_1) | instskip(NEXT) | instid1(VALU_DEP_3)
	v_add_co_ci_u32_e64 v4, s7, 0, v4, s7
	v_cmp_lt_i32_e32 vcc_lo, s72, v33
	s_or_b32 s21, vcc_lo, s21
	s_waitcnt vmcnt(0)
	v_fma_f64 v[1:2], v[34:35], v[34:35], v[1:2]
	s_and_not1_b32 exec_lo, exec_lo, s21
	s_cbranch_execnz .LBB20_233
; %bb.234:                              ;   in Loop: Header=BB20_22 Depth=2
	s_or_b32 exec_lo, exec_lo, s21
.LBB20_235:                             ;   in Loop: Header=BB20_22 Depth=2
	s_delay_alu instid0(SALU_CYCLE_1)
	s_or_b32 exec_lo, exec_lo, s8
	ds_store_b64 v6, v[1:2] offset:2048
	s_waitcnt lgkmcnt(0)
	s_barrier
	buffer_gl0_inv
	s_and_saveexec_b32 s7, s0
	s_cbranch_execz .LBB20_237
; %bb.236:                              ;   in Loop: Header=BB20_22 Depth=2
	ds_load_b64 v[3:4], v6 offset:3072
	s_waitcnt lgkmcnt(0)
	v_add_f64 v[1:2], v[1:2], v[3:4]
.LBB20_237:                             ;   in Loop: Header=BB20_22 Depth=2
	s_or_b32 exec_lo, exec_lo, s7
	s_barrier
	buffer_gl0_inv
	s_and_saveexec_b32 s7, s0
	s_cbranch_execz .LBB20_239
; %bb.238:                              ;   in Loop: Header=BB20_22 Depth=2
	ds_store_b64 v6, v[1:2] offset:2048
.LBB20_239:                             ;   in Loop: Header=BB20_22 Depth=2
	s_or_b32 exec_lo, exec_lo, s7
	s_waitcnt lgkmcnt(0)
	s_barrier
	buffer_gl0_inv
	s_and_saveexec_b32 s7, s1
	s_cbranch_execz .LBB20_241
; %bb.240:                              ;   in Loop: Header=BB20_22 Depth=2
	ds_load_b64 v[3:4], v6 offset:2560
	s_waitcnt lgkmcnt(0)
	v_add_f64 v[1:2], v[1:2], v[3:4]
.LBB20_241:                             ;   in Loop: Header=BB20_22 Depth=2
	s_or_b32 exec_lo, exec_lo, s7
	s_barrier
	buffer_gl0_inv
	s_and_saveexec_b32 s7, s1
	s_cbranch_execz .LBB20_243
; %bb.242:                              ;   in Loop: Header=BB20_22 Depth=2
	ds_store_b64 v6, v[1:2] offset:2048
.LBB20_243:                             ;   in Loop: Header=BB20_22 Depth=2
	s_or_b32 exec_lo, exec_lo, s7
	s_waitcnt lgkmcnt(0)
	s_barrier
	buffer_gl0_inv
	s_and_saveexec_b32 s7, s3
	s_cbranch_execz .LBB20_245
; %bb.244:                              ;   in Loop: Header=BB20_22 Depth=2
	v_add_nc_u32_e32 v33, 0x800, v6
	ds_load_2addr_b64 v[1:4], v33 offset1:32
	s_waitcnt lgkmcnt(0)
	v_add_f64 v[1:2], v[1:2], v[3:4]
	ds_store_b64 v6, v[1:2] offset:2048
	s_waitcnt lgkmcnt(0)
	buffer_gl1_inv
	buffer_gl0_inv
	ds_load_2addr_b64 v[1:4], v33 offset1:16
	s_waitcnt lgkmcnt(0)
	v_add_f64 v[1:2], v[1:2], v[3:4]
	ds_store_b64 v6, v[1:2] offset:2048
	s_waitcnt lgkmcnt(0)
	buffer_gl1_inv
	buffer_gl0_inv
	;; [unrolled: 7-line block ×4, first 2 shown]
	ds_load_2addr_b64 v[1:4], v33 offset1:2
	s_waitcnt lgkmcnt(0)
	v_add_f64 v[1:2], v[1:2], v[3:4]
	v_add_nc_u32_e32 v3, 0x800, v6
	ds_store_b64 v6, v[1:2] offset:2048
	s_waitcnt lgkmcnt(0)
	buffer_gl1_inv
	buffer_gl0_inv
	ds_load_2addr_b64 v[1:4], v3 offset1:1
	s_waitcnt lgkmcnt(0)
	v_add_f64 v[1:2], v[1:2], v[3:4]
	ds_store_b64 v6, v[1:2] offset:2048
	s_waitcnt lgkmcnt(0)
	buffer_gl1_inv
	buffer_gl0_inv
.LBB20_245:                             ;   in Loop: Header=BB20_22 Depth=2
	s_or_b32 exec_lo, exec_lo, s7
	s_and_saveexec_b32 s7, s2
	s_cbranch_execz .LBB20_247
; %bb.246:                              ;   in Loop: Header=BB20_22 Depth=2
	ds_load_b64 v[1:2], v53 offset:2048
	s_waitcnt lgkmcnt(0)
	v_cmp_gt_f64_e32 vcc_lo, 0x10000000, v[1:2]
	v_cndmask_b32_e64 v3, 0, 1, vcc_lo
	s_and_b32 s8, vcc_lo, exec_lo
	s_cselect_b32 s8, 0xffffff80, 0
	s_delay_alu instid0(VALU_DEP_1) | instskip(NEXT) | instid1(VALU_DEP_1)
	v_lshlrev_b32_e32 v3, 8, v3
	v_ldexp_f64 v[1:2], v[1:2], v3
	s_delay_alu instid0(VALU_DEP_1) | instskip(SKIP_4) | instid1(VALU_DEP_1)
	v_rsq_f64_e32 v[3:4], v[1:2]
	v_cmp_class_f64_e64 vcc_lo, v[1:2], 0x260
	s_waitcnt_depctr 0xfff
	v_mul_f64 v[33:34], v[1:2], v[3:4]
	v_mul_f64 v[3:4], v[3:4], 0.5
	v_fma_f64 v[35:36], -v[3:4], v[33:34], 0.5
	s_delay_alu instid0(VALU_DEP_1) | instskip(SKIP_1) | instid1(VALU_DEP_2)
	v_fma_f64 v[33:34], v[33:34], v[35:36], v[33:34]
	v_fma_f64 v[3:4], v[3:4], v[35:36], v[3:4]
	v_fma_f64 v[35:36], -v[33:34], v[33:34], v[1:2]
	s_delay_alu instid0(VALU_DEP_1) | instskip(NEXT) | instid1(VALU_DEP_1)
	v_fma_f64 v[33:34], v[35:36], v[3:4], v[33:34]
	v_fma_f64 v[35:36], -v[33:34], v[33:34], v[1:2]
	s_delay_alu instid0(VALU_DEP_1) | instskip(NEXT) | instid1(VALU_DEP_1)
	v_fma_f64 v[3:4], v[35:36], v[3:4], v[33:34]
	v_ldexp_f64 v[3:4], v[3:4], s8
	s_delay_alu instid0(VALU_DEP_1)
	v_dual_cndmask_b32 v2, v4, v2 :: v_dual_cndmask_b32 v1, v3, v1
	ds_store_b64 v53, v[1:2] offset:2048
.LBB20_247:                             ;   in Loop: Header=BB20_22 Depth=2
	s_or_b32 exec_lo, exec_lo, s7
	s_waitcnt lgkmcnt(0)
	s_barrier
	buffer_gl0_inv
	ds_load_b32 v1, v53 offset:4096
	s_waitcnt lgkmcnt(0)
	v_ashrrev_i32_e32 v2, 31, v1
	s_delay_alu instid0(VALU_DEP_1) | instskip(NEXT) | instid1(VALU_DEP_1)
	v_lshlrev_b64 v[1:2], 3, v[1:2]
	v_add_co_u32 v1, vcc_lo, s36, v1
	s_delay_alu instid0(VALU_DEP_2)
	v_add_co_ci_u32_e32 v2, vcc_lo, s37, v2, vcc_lo
	global_load_b64 v[3:4], v[1:2], off
	ds_load_b64 v[1:2], v53 offset:2048
	s_waitcnt vmcnt(0) lgkmcnt(0)
	s_barrier
	buffer_gl0_inv
	s_and_saveexec_b32 s8, s5
	s_cbranch_execz .LBB20_250
; %bb.248:                              ;   in Loop: Header=BB20_22 Depth=2
	v_cmp_nle_f64_e32 vcc_lo, 0, v[3:4]
	s_mov_b32 s84, 0
	v_mov_b32_e32 v6, v0
	s_and_b32 s7, vcc_lo, exec_lo
	s_mov_b32 s7, 0xbff00000
	s_delay_alu instid0(SALU_CYCLE_1) | instskip(NEXT) | instid1(SALU_CYCLE_1)
	s_cselect_b32 s85, s7, 0x3ff00000
	v_div_scale_f64 v[3:4], null, v[1:2], v[1:2], s[84:85]
	s_delay_alu instid0(VALU_DEP_1) | instskip(SKIP_2) | instid1(VALU_DEP_1)
	v_rcp_f64_e32 v[33:34], v[3:4]
	s_waitcnt_depctr 0xfff
	v_fma_f64 v[35:36], -v[3:4], v[33:34], 1.0
	v_fma_f64 v[33:34], v[33:34], v[35:36], v[33:34]
	s_delay_alu instid0(VALU_DEP_1) | instskip(NEXT) | instid1(VALU_DEP_1)
	v_fma_f64 v[35:36], -v[3:4], v[33:34], 1.0
	v_fma_f64 v[33:34], v[33:34], v[35:36], v[33:34]
	v_div_scale_f64 v[35:36], vcc_lo, s[84:85], v[1:2], s[84:85]
	s_delay_alu instid0(VALU_DEP_1) | instskip(NEXT) | instid1(VALU_DEP_1)
	v_mul_f64 v[37:38], v[35:36], v[33:34]
	v_fma_f64 v[3:4], -v[3:4], v[37:38], v[35:36]
	s_delay_alu instid0(VALU_DEP_1) | instskip(NEXT) | instid1(VALU_DEP_1)
	v_div_fmas_f64 v[3:4], v[3:4], v[33:34], v[37:38]
	v_div_fixup_f64 v[1:2], v[3:4], v[1:2], s[84:85]
	v_dual_mov_b32 v3, v9 :: v_dual_mov_b32 v4, v10
	.p2align	6
.LBB20_249:                             ;   Parent Loop BB20_12 Depth=1
                                        ;     Parent Loop BB20_22 Depth=2
                                        ; =>    This Inner Loop Header: Depth=3
	global_load_b64 v[33:34], v[3:4], off
	v_add_nc_u32_e32 v6, 0x100, v6
	s_delay_alu instid0(VALU_DEP_1)
	v_cmp_lt_i32_e32 vcc_lo, s72, v6
	s_or_b32 s84, vcc_lo, s84
	s_waitcnt vmcnt(0)
	v_mul_f64 v[33:34], v[1:2], v[33:34]
	global_store_b64 v[3:4], v[33:34], off
	v_add_co_u32 v3, s7, 0x800, v3
	s_delay_alu instid0(VALU_DEP_1)
	v_add_co_ci_u32_e64 v4, s7, 0, v4, s7
	s_and_not1_b32 exec_lo, exec_lo, s84
	s_cbranch_execnz .LBB20_249
.LBB20_250:                             ;   in Loop: Header=BB20_22 Depth=2
	s_or_b32 exec_lo, exec_lo, s8
	s_waitcnt_vscnt null, 0x0
	s_barrier
.LBB20_251:                             ;   in Loop: Header=BB20_22 Depth=2
	s_waitcnt vmcnt(0)
	s_waitcnt_vscnt null, 0x0
	buffer_gl0_inv
	s_and_saveexec_b32 s21, s4
	s_cbranch_execz .LBB20_21
; %bb.252:                              ;   in Loop: Header=BB20_22 Depth=2
	v_dual_mov_b32 v1, v31 :: v_dual_mov_b32 v2, v32
	v_mov_b32_e32 v6, v0
	s_mov_b32 s83, 0
	s_set_inst_prefetch_distance 0x1
	s_branch .LBB20_254
	.p2align	6
.LBB20_253:                             ;   in Loop: Header=BB20_254 Depth=3
	s_or_b32 exec_lo, exec_lo, s7
	v_add_nc_u32_e32 v33, s69, v6
	v_add_nc_u32_e32 v6, 0x100, v6
	v_add_co_u32 v1, vcc_lo, 0x800, v1
	v_add_co_ci_u32_e32 v2, vcc_lo, 0, v2, vcc_lo
	s_delay_alu instid0(VALU_DEP_4) | instskip(NEXT) | instid1(VALU_DEP_4)
	v_ashrrev_i32_e32 v34, 31, v33
	v_cmp_le_i32_e64 s7, s38, v6
	s_delay_alu instid0(VALU_DEP_2) | instskip(NEXT) | instid1(VALU_DEP_2)
	v_lshlrev_b64 v[33:34], 3, v[33:34]
	s_or_b32 s83, s7, s83
	s_delay_alu instid0(VALU_DEP_1) | instskip(NEXT) | instid1(VALU_DEP_1)
	v_add_co_u32 v33, s8, s24, v33
	v_add_co_ci_u32_e64 v34, s8, s60, v34, s8
	s_waitcnt vmcnt(0)
	global_store_b64 v[33:34], v[3:4], off
	s_and_not1_b32 exec_lo, exec_lo, s83
	s_cbranch_execz .LBB20_21
.LBB20_254:                             ;   Parent Loop BB20_12 Depth=1
                                        ;     Parent Loop BB20_22 Depth=2
                                        ; =>    This Inner Loop Header: Depth=3
	s_delay_alu instid0(VALU_DEP_1) | instskip(SKIP_3) | instid1(VALU_DEP_3)
	v_cmp_le_i32_e32 vcc_lo, s68, v6
	v_cmp_gt_i32_e64 s7, s70, v6
	v_mov_b32_e32 v3, 0
	v_mov_b32_e32 v4, 0
	s_and_b32 s8, vcc_lo, s7
	s_delay_alu instid0(SALU_CYCLE_1)
	s_and_saveexec_b32 s7, s8
	s_cbranch_execz .LBB20_253
; %bb.255:                              ;   in Loop: Header=BB20_254 Depth=3
	global_load_b64 v[3:4], v[1:2], off
	s_branch .LBB20_253
.LBB20_256:
	s_and_saveexec_b32 s0, s2
	s_cbranch_execz .LBB20_258
; %bb.257:
	v_mov_b32_e32 v0, 0
	v_readlane_b32 s0, v61, 0
	v_readlane_b32 s1, v61, 1
	ds_load_b32 v1, v0
	s_add_u32 s0, s10, s0
	s_addc_u32 s1, s11, s1
	s_waitcnt lgkmcnt(0)
	global_store_b32 v0, v1, s[0:1]
.LBB20_258:
	s_endpgm
	.section	.rodata,"a",@progbits
	.p2align	6, 0x0
	.amdhsa_kernel _ZN9rocsolver6v33100L12stein_kernelIddPdEEviPT0_lS4_lPiS4_lS5_lS5_lT1_iilS5_lS5_S4_S5_S3_S3_
		.amdhsa_group_segment_fixed_size 8
		.amdhsa_private_segment_fixed_size 0
		.amdhsa_kernarg_size 176
		.amdhsa_user_sgpr_count 14
		.amdhsa_user_sgpr_dispatch_ptr 0
		.amdhsa_user_sgpr_queue_ptr 0
		.amdhsa_user_sgpr_kernarg_segment_ptr 1
		.amdhsa_user_sgpr_dispatch_id 0
		.amdhsa_user_sgpr_private_segment_size 0
		.amdhsa_wavefront_size32 1
		.amdhsa_uses_dynamic_stack 0
		.amdhsa_enable_private_segment 0
		.amdhsa_system_sgpr_workgroup_id_x 1
		.amdhsa_system_sgpr_workgroup_id_y 1
		.amdhsa_system_sgpr_workgroup_id_z 0
		.amdhsa_system_sgpr_workgroup_info 0
		.amdhsa_system_vgpr_workitem_id 0
		.amdhsa_next_free_vgpr 62
		.amdhsa_next_free_sgpr 105
		.amdhsa_reserve_vcc 1
		.amdhsa_float_round_mode_32 0
		.amdhsa_float_round_mode_16_64 0
		.amdhsa_float_denorm_mode_32 3
		.amdhsa_float_denorm_mode_16_64 3
		.amdhsa_dx10_clamp 1
		.amdhsa_ieee_mode 1
		.amdhsa_fp16_overflow 0
		.amdhsa_workgroup_processor_mode 1
		.amdhsa_memory_ordered 1
		.amdhsa_forward_progress 0
		.amdhsa_shared_vgpr_count 0
		.amdhsa_exception_fp_ieee_invalid_op 0
		.amdhsa_exception_fp_denorm_src 0
		.amdhsa_exception_fp_ieee_div_zero 0
		.amdhsa_exception_fp_ieee_overflow 0
		.amdhsa_exception_fp_ieee_underflow 0
		.amdhsa_exception_fp_ieee_inexact 0
		.amdhsa_exception_int_div_zero 0
	.end_amdhsa_kernel
	.section	.text._ZN9rocsolver6v33100L12stein_kernelIddPdEEviPT0_lS4_lPiS4_lS5_lS5_lT1_iilS5_lS5_S4_S5_S3_S3_,"axG",@progbits,_ZN9rocsolver6v33100L12stein_kernelIddPdEEviPT0_lS4_lPiS4_lS5_lS5_lT1_iilS5_lS5_S4_S5_S3_S3_,comdat
.Lfunc_end20:
	.size	_ZN9rocsolver6v33100L12stein_kernelIddPdEEviPT0_lS4_lPiS4_lS5_lS5_lT1_iilS5_lS5_S4_S5_S3_S3_, .Lfunc_end20-_ZN9rocsolver6v33100L12stein_kernelIddPdEEviPT0_lS4_lPiS4_lS5_lS5_lT1_iilS5_lS5_S4_S5_S3_S3_
                                        ; -- End function
	.section	.AMDGPU.csdata,"",@progbits
; Kernel info:
; codeLenInByte = 12076
; NumSgprs: 107
; NumVgprs: 62
; ScratchSize: 0
; MemoryBound: 1
; FloatMode: 240
; IeeeMode: 1
; LDSByteSize: 8 bytes/workgroup (compile time only)
; SGPRBlocks: 13
; VGPRBlocks: 7
; NumSGPRsForWavesPerEU: 107
; NumVGPRsForWavesPerEU: 62
; Occupancy: 16
; WaveLimiterHint : 1
; COMPUTE_PGM_RSRC2:SCRATCH_EN: 0
; COMPUTE_PGM_RSRC2:USER_SGPR: 14
; COMPUTE_PGM_RSRC2:TRAP_HANDLER: 0
; COMPUTE_PGM_RSRC2:TGID_X_EN: 1
; COMPUTE_PGM_RSRC2:TGID_Y_EN: 1
; COMPUTE_PGM_RSRC2:TGID_Z_EN: 0
; COMPUTE_PGM_RSRC2:TIDIG_COMP_CNT: 0
	.section	.text._ZN9rocsolver6v33100L15syevx_sort_eigsIddPdEEviPiPT0_lT1_iilS3_lS3_S3_,"axG",@progbits,_ZN9rocsolver6v33100L15syevx_sort_eigsIddPdEEviPiPT0_lT1_iilS3_lS3_S3_,comdat
	.globl	_ZN9rocsolver6v33100L15syevx_sort_eigsIddPdEEviPiPT0_lT1_iilS3_lS3_S3_ ; -- Begin function _ZN9rocsolver6v33100L15syevx_sort_eigsIddPdEEviPiPT0_lT1_iilS3_lS3_S3_
	.p2align	8
	.type	_ZN9rocsolver6v33100L15syevx_sort_eigsIddPdEEviPiPT0_lT1_iilS3_lS3_S3_,@function
_ZN9rocsolver6v33100L15syevx_sort_eigsIddPdEEviPiPT0_lT1_iilS3_lS3_S3_: ; @_ZN9rocsolver6v33100L15syevx_sort_eigsIddPdEEviPiPT0_lT1_iilS3_lS3_S3_
; %bb.0:
	s_load_b256 s[20:27], s[0:1], 0x8
	s_mov_b32 s28, s15
	s_mov_b32 s29, 0
	s_load_b256 s[36:43], s[0:1], 0x30
	s_lshl_b64 s[2:3], s[28:29], 2
	s_mov_b64 s[18:19], s[0:1]
	s_mov_b32 s32, 0
	s_waitcnt lgkmcnt(0)
	s_add_u32 s4, s20, s2
	s_addc_u32 s5, s21, s3
	s_load_b64 s[0:1], s[0:1], 0x50
	s_load_b32 s44, s[4:5], 0x0
	s_add_u32 s2, s42, s2
	s_addc_u32 s3, s43, s3
	s_cmp_eq_u64 s[38:39], 0
	s_mov_b64 s[20:21], 0
	s_cbranch_scc1 .LBB21_2
; %bb.1:
	s_mul_i32 s4, s28, s41
	s_mul_hi_u32 s5, s28, s40
	s_delay_alu instid0(SALU_CYCLE_1) | instskip(SKIP_1) | instid1(SALU_CYCLE_1)
	s_add_i32 s5, s5, s4
	s_mul_i32 s4, s28, s40
	s_lshl_b64 s[4:5], s[4:5], 2
	s_delay_alu instid0(SALU_CYCLE_1)
	s_add_u32 s20, s38, s4
	s_addc_u32 s21, s39, s5
.LBB21_2:
	s_load_b32 s43, s[18:19], 0x0
	s_mov_b32 s4, -1
	s_waitcnt lgkmcnt(0)
	s_cmp_le_i32 s44, s43
	s_cbranch_scc1 .LBB21_6
; %bb.3:
	s_and_b32 vcc_lo, exec_lo, s4
	s_cbranch_vccnz .LBB21_134
.LBB21_4:
	s_and_saveexec_b32 s0, s29
	s_cbranch_execnz .LBB21_135
.LBB21_5:
	s_endpgm
.LBB21_6:
	s_cmp_lg_u64 s[0:1], 0
	s_cbranch_scc0 .LBB21_19
; %bb.7:
	s_load_b64 s[6:7], s[18:19], 0x64
	s_load_b32 s45, s[2:3], 0x0
	s_mul_i32 s34, s28, s43
	s_mov_b32 s35, 0
	v_bfe_u32 v4, v0, 20, 10
	s_lshl_b64 s[4:5], s[34:35], 2
	v_bfe_u32 v3, v0, 10, 10
	v_and_b32_e32 v42, 0x3ff, v0
	s_waitcnt lgkmcnt(0)
	s_barrier
	buffer_gl0_inv
	s_and_b32 s7, s7, 0xffff
	s_lshr_b32 s3, s6, 16
	s_and_b32 s6, s6, 0xffff
	s_and_b32 s2, s7, 0xffff
	s_add_u32 s40, s0, s4
	s_addc_u32 s41, s1, s5
	s_cmp_gt_i32 s44, 0
	s_mul_i32 s3, s3, s6
	s_cselect_b32 s7, -1, 0
	s_cmp_lg_u64 s[22:23], 0
	v_mul_lo_u32 v41, s3, v4
	s_cselect_b32 s8, -1, 0
	v_mul_u32_u24_e32 v43, s6, v3
	s_and_b32 s7, s8, s7
	s_mul_i32 s42, s3, s2
	s_and_b32 vcc_lo, exec_lo, s7
	s_cbranch_vccz .LBB21_20
; %bb.8:
	s_delay_alu instid0(VALU_DEP_2)
	v_add3_u32 v0, v43, v42, v41
	s_mul_i32 s46, s3, s2
	s_mov_b32 s2, exec_lo
	s_barrier
	buffer_gl0_inv
	v_cmpx_gt_u32_e64 s44, v0
	s_cbranch_execz .LBB21_11
; %bb.9:
	v_dual_mov_b32 v2, 0 :: v_dual_mov_b32 v1, v0
	s_mov_b32 s3, 0
.LBB21_10:                              ; =>This Inner Loop Header: Depth=1
	s_delay_alu instid0(VALU_DEP_1) | instskip(NEXT) | instid1(VALU_DEP_1)
	v_lshlrev_b64 v[5:6], 2, v[1:2]
	v_add_co_u32 v5, vcc_lo, s40, v5
	s_delay_alu instid0(VALU_DEP_2) | instskip(SKIP_2) | instid1(VALU_DEP_1)
	v_add_co_ci_u32_e32 v6, vcc_lo, s41, v6, vcc_lo
	global_store_b32 v[5:6], v1, off
	v_add_nc_u32_e32 v1, s46, v1
	v_cmp_le_u32_e32 vcc_lo, s44, v1
	s_or_b32 s3, vcc_lo, s3
	s_delay_alu instid0(SALU_CYCLE_1)
	s_and_not1_b32 exec_lo, exec_lo, s3
	s_cbranch_execnz .LBB21_10
.LBB21_11:
	s_or_b32 exec_lo, exec_lo, s2
	s_mul_i32 s2, s28, s25
	s_mul_hi_u32 s3, s28, s24
	v_or3_b32 v1, v3, v4, v42
	s_add_i32 s3, s3, s2
	s_mul_i32 s2, s28, s24
	s_mov_b32 s29, exec_lo
	s_lshl_b64 s[6:7], s[2:3], 3
	s_waitcnt_vscnt null, 0x0
	s_add_u32 s2, s22, s6
	s_addc_u32 s3, s23, s7
	s_barrier
	buffer_gl0_inv
	v_cmpx_eq_u32_e32 0, v1
	s_cbranch_execz .LBB21_85
; %bb.12:
	s_cmpk_lt_i32 s44, 0x2be
	s_cbranch_scc1 .LBB21_22
; %bb.13:
	s_add_u32 s8, s0, s4
	v_dual_mov_b32 v5, 0 :: v_dual_mov_b32 v6, 0x1000
	s_addc_u32 s9, s1, s5
	s_add_u32 s8, s8, 0xaf4
	s_mov_b64 s[10:11], 0x2bd
	s_addc_u32 s9, s9, 0
	s_mov_b32 s13, 0
	s_mov_b64 s[14:15], s[2:3]
	s_branch .LBB21_15
.LBB21_14:                              ;   in Loop: Header=BB21_15 Depth=1
	s_lshl_b64 s[16:17], s[34:35], 3
	s_delay_alu instid0(SALU_CYCLE_1) | instskip(SKIP_2) | instid1(SALU_CYCLE_1)
	s_add_u32 s16, s2, s16
	s_addc_u32 s17, s3, s17
	s_lshl_b64 s[24:25], s[34:35], 2
	s_add_u32 s24, s40, s24
	s_addc_u32 s25, s41, s25
	s_add_u32 s10, s10, 1
	s_addc_u32 s11, s11, 0
	;; [unrolled: 2-line block ×4, first 2 shown]
	s_cmp_ge_i32 s10, s44
	s_waitcnt vmcnt(1)
	global_store_b64 v5, v[1:2], s[16:17]
	s_waitcnt vmcnt(0)
	global_store_b32 v5, v7, s[24:25]
	s_cbranch_scc1 .LBB21_22
.LBB21_15:                              ; =>This Loop Header: Depth=1
                                        ;     Child Loop BB21_17 Depth 2
	s_mov_b32 s12, s10
	s_mov_b64 s[30:31], s[10:11]
	s_lshl_b64 s[16:17], s[12:13], 3
	s_mov_b64 s[34:35], s[12:13]
	s_add_u32 s16, s2, s16
	s_addc_u32 s17, s3, s17
	s_lshl_b64 s[24:25], s[12:13], 2
	s_delay_alu instid0(SALU_CYCLE_1)
	s_add_u32 s24, s40, s24
	s_addc_u32 s25, s41, s25
	s_clause 0x1
	global_load_b64 v[1:2], v5, s[16:17]
	global_load_b32 v7, v5, s[24:25]
	s_cmpk_lt_u32 s10, 0x2bd
	s_mov_b64 s[24:25], s[8:9]
	s_mov_b64 s[16:17], s[14:15]
	s_cbranch_scc0 .LBB21_17
	s_branch .LBB21_14
	.p2align	6
.LBB21_16:                              ;   in Loop: Header=BB21_17 Depth=2
	global_load_b32 v8, v5, s[24:25] offset:-2804
	s_add_u32 s38, s24, 0xfffff50c
	s_addc_u32 s39, s25, -1
	s_add_u32 s34, s30, 0xfffffd43
	s_addc_u32 s35, s31, -1
	global_store_b64 v6, v[3:4], s[16:17] offset:1512
	s_add_u32 s16, s16, 0xffffea18
	s_addc_u32 s17, s17, -1
	s_cmpk_lt_i32 s30, 0x57a
	s_mov_b64 s[30:31], s[34:35]
	s_cselect_b32 s12, -1, 0
	s_waitcnt vmcnt(0)
	global_store_b32 v5, v8, s[24:25]
	s_mov_b64 s[24:25], s[38:39]
	s_and_not1_b32 vcc_lo, exec_lo, s12
	s_cbranch_vccz .LBB21_14
.LBB21_17:                              ;   Parent Loop BB21_15 Depth=1
                                        ; =>  This Inner Loop Header: Depth=2
	global_load_b64 v[3:4], v5, s[16:17]
	s_mov_b32 s12, -1
	s_waitcnt vmcnt(0)
	v_cmp_ngt_f64_e32 vcc_lo, v[3:4], v[1:2]
	s_cbranch_vccz .LBB21_16
; %bb.18:                               ;   in Loop: Header=BB21_17 Depth=2
	s_mov_b64 s[34:35], s[30:31]
                                        ; implicit-def: $sgpr30_sgpr31
                                        ; implicit-def: $sgpr16_sgpr17
                                        ; implicit-def: $sgpr24_sgpr25
	s_and_not1_b32 vcc_lo, exec_lo, s12
	s_cbranch_vccnz .LBB21_17
	s_branch .LBB21_14
.LBB21_19:
	s_cbranch_execnz .LBB21_132
	s_branch .LBB21_133
.LBB21_20:
                                        ; implicit-def: $vgpr0
                                        ; implicit-def: $sgpr46
	s_cbranch_execnz .LBB21_100
.LBB21_21:
	s_mov_b32 s42, s46
	s_and_saveexec_b32 s17, s35
	s_cbranch_execnz .LBB21_101
	s_branch .LBB21_131
.LBB21_22:
	s_cmpk_lt_i32 s44, 0x12e
	s_cbranch_scc1 .LBB21_31
; %bb.23:
	s_add_u32 s8, s0, s4
	v_mov_b32_e32 v5, 0
	s_addc_u32 s9, s1, s5
	s_add_u32 s8, s8, 0x4b4
	s_mov_b64 s[10:11], 0x12d
	s_addc_u32 s9, s9, 0
	s_mov_b32 s13, 0
	s_mov_b64 s[14:15], s[2:3]
	s_branch .LBB21_25
.LBB21_24:                              ;   in Loop: Header=BB21_25 Depth=1
	s_lshl_b64 s[16:17], s[34:35], 3
	s_delay_alu instid0(SALU_CYCLE_1) | instskip(SKIP_2) | instid1(SALU_CYCLE_1)
	s_add_u32 s16, s2, s16
	s_addc_u32 s17, s3, s17
	s_lshl_b64 s[24:25], s[34:35], 2
	s_add_u32 s24, s40, s24
	s_addc_u32 s25, s41, s25
	s_add_u32 s10, s10, 1
	s_addc_u32 s11, s11, 0
	;; [unrolled: 2-line block ×4, first 2 shown]
	s_cmp_lt_i32 s10, s44
	s_waitcnt vmcnt(1)
	global_store_b64 v5, v[1:2], s[16:17]
	s_waitcnt vmcnt(0)
	global_store_b32 v5, v6, s[24:25]
	s_cbranch_scc0 .LBB21_31
.LBB21_25:                              ; =>This Loop Header: Depth=1
                                        ;     Child Loop BB21_27 Depth 2
	s_mov_b32 s12, s10
	s_mov_b64 s[30:31], s[8:9]
	s_lshl_b64 s[16:17], s[12:13], 3
	s_mov_b64 s[34:35], s[12:13]
	s_add_u32 s16, s2, s16
	s_addc_u32 s17, s3, s17
	s_lshl_b64 s[24:25], s[12:13], 2
	s_delay_alu instid0(SALU_CYCLE_1)
	s_add_u32 s24, s40, s24
	s_addc_u32 s25, s41, s25
	s_clause 0x1
	global_load_b64 v[1:2], v5, s[16:17]
	global_load_b32 v6, v5, s[24:25]
	s_cmpk_lt_u32 s10, 0x12d
	s_mov_b64 s[24:25], s[14:15]
	s_mov_b64 s[16:17], s[10:11]
	s_cbranch_scc0 .LBB21_27
	s_branch .LBB21_24
	.p2align	6
.LBB21_26:                              ;   in Loop: Header=BB21_27 Depth=2
	global_load_b32 v7, v5, s[30:31] offset:-1204
	s_add_u32 s34, s30, 0xfffffb4c
	s_addc_u32 s35, s31, -1
	s_add_u32 s38, s16, 0xfffffed3
	s_addc_u32 s39, s17, -1
	global_store_b64 v5, v[3:4], s[24:25] offset:2408
	s_add_u32 s24, s24, 0xfffff698
	s_addc_u32 s25, s25, -1
	s_cmpk_lt_i32 s16, 0x25a
	s_mov_b32 s12, 0
	s_mov_b64 s[16:17], s[38:39]
	s_cselect_b32 s33, -1, 0
	s_waitcnt vmcnt(0)
	global_store_b32 v5, v7, s[30:31]
	s_mov_b64 s[30:31], s[34:35]
                                        ; implicit-def: $sgpr34_sgpr35
	s_and_not1_b32 vcc_lo, exec_lo, s33
	s_cbranch_vccz .LBB21_29
.LBB21_27:                              ;   Parent Loop BB21_25 Depth=1
                                        ; =>  This Inner Loop Header: Depth=2
	global_load_b64 v[3:4], v5, s[24:25]
	s_mov_b32 s12, -1
	s_waitcnt vmcnt(0)
	v_cmp_ngt_f64_e32 vcc_lo, v[3:4], v[1:2]
	s_cbranch_vccz .LBB21_26
; %bb.28:                               ;   in Loop: Header=BB21_25 Depth=1
	s_mov_b64 s[34:35], s[16:17]
                                        ; implicit-def: $sgpr30_sgpr31
                                        ; implicit-def: $sgpr24_sgpr25
                                        ; implicit-def: $sgpr38_sgpr39
.LBB21_29:                              ;   in Loop: Header=BB21_25 Depth=1
	s_and_not1_b32 vcc_lo, exec_lo, s12
	s_cbranch_vccz .LBB21_24
; %bb.30:                               ;   in Loop: Header=BB21_25 Depth=1
	s_bfe_i64 s[34:35], s[38:39], 0x200000
	s_branch .LBB21_24
.LBB21_31:
	s_cmpk_lt_i32 s44, 0x85
	s_cbranch_scc1 .LBB21_40
; %bb.32:
	s_add_u32 s8, s0, s4
	v_mov_b32_e32 v5, 0
	s_addc_u32 s9, s1, s5
	s_add_u32 s8, s8, 0x210
	s_mov_b64 s[10:11], 0x84
	s_addc_u32 s9, s9, 0
	s_mov_b32 s13, 0
	s_mov_b64 s[14:15], s[2:3]
	s_branch .LBB21_34
.LBB21_33:                              ;   in Loop: Header=BB21_34 Depth=1
	s_lshl_b64 s[16:17], s[34:35], 3
	s_delay_alu instid0(SALU_CYCLE_1) | instskip(SKIP_2) | instid1(SALU_CYCLE_1)
	s_add_u32 s16, s2, s16
	s_addc_u32 s17, s3, s17
	s_lshl_b64 s[24:25], s[34:35], 2
	s_add_u32 s24, s40, s24
	s_addc_u32 s25, s41, s25
	s_add_u32 s10, s10, 1
	s_addc_u32 s11, s11, 0
	;; [unrolled: 2-line block ×4, first 2 shown]
	s_cmp_lt_i32 s10, s44
	s_waitcnt vmcnt(1)
	global_store_b64 v5, v[1:2], s[16:17]
	s_waitcnt vmcnt(0)
	global_store_b32 v5, v6, s[24:25]
	s_cbranch_scc0 .LBB21_40
.LBB21_34:                              ; =>This Loop Header: Depth=1
                                        ;     Child Loop BB21_36 Depth 2
	s_mov_b32 s12, s10
	s_mov_b64 s[30:31], s[8:9]
	s_lshl_b64 s[16:17], s[12:13], 3
	s_mov_b64 s[34:35], s[12:13]
	s_add_u32 s16, s2, s16
	s_addc_u32 s17, s3, s17
	s_lshl_b64 s[24:25], s[12:13], 2
	s_delay_alu instid0(SALU_CYCLE_1)
	s_add_u32 s24, s40, s24
	s_addc_u32 s25, s41, s25
	s_clause 0x1
	global_load_b64 v[1:2], v5, s[16:17]
	global_load_b32 v6, v5, s[24:25]
	s_cmpk_lt_u32 s10, 0x84
	s_mov_b64 s[24:25], s[14:15]
	s_mov_b64 s[16:17], s[10:11]
	s_cbranch_scc0 .LBB21_36
	s_branch .LBB21_33
	.p2align	6
.LBB21_35:                              ;   in Loop: Header=BB21_36 Depth=2
	global_load_b32 v7, v5, s[30:31] offset:-528
	s_add_u32 s34, s30, 0xfffffdf0
	s_addc_u32 s35, s31, -1
	s_add_u32 s38, s16, 0xffffff7c
	s_addc_u32 s39, s17, -1
	global_store_b64 v5, v[3:4], s[24:25] offset:1056
	s_add_u32 s24, s24, 0xfffffbe0
	s_addc_u32 s25, s25, -1
	s_cmpk_lt_i32 s16, 0x108
	s_mov_b32 s12, 0
	s_mov_b64 s[16:17], s[38:39]
	s_cselect_b32 s33, -1, 0
	s_waitcnt vmcnt(0)
	global_store_b32 v5, v7, s[30:31]
	s_mov_b64 s[30:31], s[34:35]
                                        ; implicit-def: $sgpr34_sgpr35
	s_and_not1_b32 vcc_lo, exec_lo, s33
	s_cbranch_vccz .LBB21_38
.LBB21_36:                              ;   Parent Loop BB21_34 Depth=1
                                        ; =>  This Inner Loop Header: Depth=2
	global_load_b64 v[3:4], v5, s[24:25]
	s_mov_b32 s12, -1
	s_waitcnt vmcnt(0)
	v_cmp_ngt_f64_e32 vcc_lo, v[3:4], v[1:2]
	s_cbranch_vccz .LBB21_35
; %bb.37:                               ;   in Loop: Header=BB21_34 Depth=1
	s_mov_b64 s[34:35], s[16:17]
                                        ; implicit-def: $sgpr30_sgpr31
                                        ; implicit-def: $sgpr24_sgpr25
                                        ; implicit-def: $sgpr38_sgpr39
.LBB21_38:                              ;   in Loop: Header=BB21_34 Depth=1
	s_and_not1_b32 vcc_lo, exec_lo, s12
	s_cbranch_vccz .LBB21_33
; %bb.39:                               ;   in Loop: Header=BB21_34 Depth=1
	s_bfe_i64 s[34:35], s[38:39], 0x200000
	s_branch .LBB21_33
.LBB21_40:
	s_cmp_lt_i32 s44, 58
	s_cbranch_scc1 .LBB21_49
; %bb.41:
	s_add_u32 s8, s0, s4
	v_mov_b32_e32 v5, 0
	s_addc_u32 s9, s1, s5
	s_add_u32 s8, s8, 0xe4
	s_addc_u32 s9, s9, 0
	s_mov_b64 s[10:11], 57
	s_mov_b32 s13, 0
	s_mov_b64 s[14:15], s[2:3]
	s_branch .LBB21_43
.LBB21_42:                              ;   in Loop: Header=BB21_43 Depth=1
	s_lshl_b64 s[16:17], s[34:35], 3
	s_delay_alu instid0(SALU_CYCLE_1) | instskip(SKIP_2) | instid1(SALU_CYCLE_1)
	s_add_u32 s16, s2, s16
	s_addc_u32 s17, s3, s17
	s_lshl_b64 s[24:25], s[34:35], 2
	s_add_u32 s24, s40, s24
	s_addc_u32 s25, s41, s25
	s_add_u32 s10, s10, 1
	s_addc_u32 s11, s11, 0
	;; [unrolled: 2-line block ×4, first 2 shown]
	s_cmp_lt_i32 s10, s44
	s_waitcnt vmcnt(1)
	global_store_b64 v5, v[1:2], s[16:17]
	s_waitcnt vmcnt(0)
	global_store_b32 v5, v6, s[24:25]
	s_cbranch_scc0 .LBB21_49
.LBB21_43:                              ; =>This Loop Header: Depth=1
                                        ;     Child Loop BB21_45 Depth 2
	s_mov_b32 s12, s10
	s_mov_b64 s[30:31], s[8:9]
	s_lshl_b64 s[16:17], s[12:13], 3
	s_mov_b64 s[34:35], s[12:13]
	s_add_u32 s16, s2, s16
	s_addc_u32 s17, s3, s17
	s_lshl_b64 s[24:25], s[12:13], 2
	s_delay_alu instid0(SALU_CYCLE_1)
	s_add_u32 s24, s40, s24
	s_addc_u32 s25, s41, s25
	s_clause 0x1
	global_load_b64 v[1:2], v5, s[16:17]
	global_load_b32 v6, v5, s[24:25]
	s_cmp_lt_u32 s10, 57
	s_mov_b64 s[24:25], s[14:15]
	s_mov_b64 s[16:17], s[10:11]
	s_cbranch_scc0 .LBB21_45
	s_branch .LBB21_42
	.p2align	6
.LBB21_44:                              ;   in Loop: Header=BB21_45 Depth=2
	global_load_b32 v7, v5, s[30:31] offset:-228
	s_add_u32 s34, s30, 0xffffff1c
	s_addc_u32 s35, s31, -1
	s_add_u32 s38, s16, 0xffffffc7
	s_addc_u32 s39, s17, -1
	global_store_b64 v5, v[3:4], s[24:25] offset:456
	s_add_u32 s24, s24, 0xfffffe38
	s_addc_u32 s25, s25, -1
	s_cmpk_lt_i32 s16, 0x72
	s_mov_b32 s12, 0
	s_mov_b64 s[16:17], s[38:39]
	s_cselect_b32 s33, -1, 0
	s_waitcnt vmcnt(0)
	global_store_b32 v5, v7, s[30:31]
	s_mov_b64 s[30:31], s[34:35]
                                        ; implicit-def: $sgpr34_sgpr35
	s_and_not1_b32 vcc_lo, exec_lo, s33
	s_cbranch_vccz .LBB21_47
.LBB21_45:                              ;   Parent Loop BB21_43 Depth=1
                                        ; =>  This Inner Loop Header: Depth=2
	global_load_b64 v[3:4], v5, s[24:25]
	s_mov_b32 s12, -1
	s_waitcnt vmcnt(0)
	v_cmp_ngt_f64_e32 vcc_lo, v[3:4], v[1:2]
	s_cbranch_vccz .LBB21_44
; %bb.46:                               ;   in Loop: Header=BB21_43 Depth=1
	s_mov_b64 s[34:35], s[16:17]
                                        ; implicit-def: $sgpr30_sgpr31
                                        ; implicit-def: $sgpr24_sgpr25
                                        ; implicit-def: $sgpr38_sgpr39
.LBB21_47:                              ;   in Loop: Header=BB21_43 Depth=1
	s_and_not1_b32 vcc_lo, exec_lo, s12
	s_cbranch_vccz .LBB21_42
; %bb.48:                               ;   in Loop: Header=BB21_43 Depth=1
	s_bfe_i64 s[34:35], s[38:39], 0x200000
	s_branch .LBB21_42
.LBB21_49:
	s_cmp_lt_i32 s44, 24
	s_cbranch_scc1 .LBB21_58
; %bb.50:
	s_add_u32 s8, s0, s4
	v_mov_b32_e32 v5, 0
	s_addc_u32 s9, s1, s5
	s_add_u32 s8, s8, 0x5c
	s_addc_u32 s9, s9, 0
	s_mov_b64 s[10:11], 23
	s_mov_b32 s13, 0
	s_mov_b64 s[14:15], s[2:3]
	s_branch .LBB21_52
.LBB21_51:                              ;   in Loop: Header=BB21_52 Depth=1
	s_lshl_b64 s[16:17], s[34:35], 3
	s_delay_alu instid0(SALU_CYCLE_1) | instskip(SKIP_2) | instid1(SALU_CYCLE_1)
	s_add_u32 s16, s2, s16
	s_addc_u32 s17, s3, s17
	s_lshl_b64 s[24:25], s[34:35], 2
	s_add_u32 s24, s40, s24
	s_addc_u32 s25, s41, s25
	s_add_u32 s10, s10, 1
	s_addc_u32 s11, s11, 0
	s_add_u32 s8, s8, 4
	s_addc_u32 s9, s9, 0
	s_add_u32 s14, s14, 8
	s_addc_u32 s15, s15, 0
	s_cmp_lt_i32 s10, s44
	s_waitcnt vmcnt(1)
	global_store_b64 v5, v[1:2], s[16:17]
	s_waitcnt vmcnt(0)
	global_store_b32 v5, v6, s[24:25]
	s_cbranch_scc0 .LBB21_58
.LBB21_52:                              ; =>This Loop Header: Depth=1
                                        ;     Child Loop BB21_54 Depth 2
	s_mov_b32 s12, s10
	s_mov_b64 s[30:31], s[8:9]
	s_lshl_b64 s[16:17], s[12:13], 3
	s_mov_b64 s[34:35], s[12:13]
	s_add_u32 s16, s2, s16
	s_addc_u32 s17, s3, s17
	s_lshl_b64 s[24:25], s[12:13], 2
	s_delay_alu instid0(SALU_CYCLE_1)
	s_add_u32 s24, s40, s24
	s_addc_u32 s25, s41, s25
	s_clause 0x1
	global_load_b64 v[1:2], v5, s[16:17]
	global_load_b32 v6, v5, s[24:25]
	s_cmp_lt_u32 s10, 23
	s_mov_b64 s[24:25], s[14:15]
	s_mov_b64 s[16:17], s[10:11]
	s_cbranch_scc0 .LBB21_54
	s_branch .LBB21_51
	.p2align	6
.LBB21_53:                              ;   in Loop: Header=BB21_54 Depth=2
	global_load_b32 v7, v5, s[30:31] offset:-92
	s_add_u32 s34, s30, 0xffffffa4
	s_addc_u32 s35, s31, -1
	s_add_u32 s38, s16, 0xffffffe9
	s_addc_u32 s39, s17, -1
	global_store_b64 v5, v[3:4], s[24:25] offset:184
	s_add_u32 s24, s24, 0xffffff48
	s_addc_u32 s25, s25, -1
	s_cmp_lt_i32 s16, 46
	s_mov_b32 s12, 0
	s_mov_b64 s[16:17], s[38:39]
	s_cselect_b32 s33, -1, 0
	s_waitcnt vmcnt(0)
	global_store_b32 v5, v7, s[30:31]
	s_mov_b64 s[30:31], s[34:35]
                                        ; implicit-def: $sgpr34_sgpr35
	s_and_not1_b32 vcc_lo, exec_lo, s33
	s_cbranch_vccz .LBB21_56
.LBB21_54:                              ;   Parent Loop BB21_52 Depth=1
                                        ; =>  This Inner Loop Header: Depth=2
	global_load_b64 v[3:4], v5, s[24:25]
	s_mov_b32 s12, -1
	s_waitcnt vmcnt(0)
	v_cmp_ngt_f64_e32 vcc_lo, v[3:4], v[1:2]
	s_cbranch_vccz .LBB21_53
; %bb.55:                               ;   in Loop: Header=BB21_52 Depth=1
	s_mov_b64 s[34:35], s[16:17]
                                        ; implicit-def: $sgpr30_sgpr31
                                        ; implicit-def: $sgpr24_sgpr25
                                        ; implicit-def: $sgpr38_sgpr39
.LBB21_56:                              ;   in Loop: Header=BB21_52 Depth=1
	s_and_not1_b32 vcc_lo, exec_lo, s12
	s_cbranch_vccz .LBB21_51
; %bb.57:                               ;   in Loop: Header=BB21_52 Depth=1
	s_bfe_i64 s[34:35], s[38:39], 0x200000
	s_branch .LBB21_51
.LBB21_58:
	s_cmp_lt_i32 s44, 11
	s_cbranch_scc1 .LBB21_67
; %bb.59:
	s_add_u32 s8, s0, s4
	v_mov_b32_e32 v5, 0
	s_addc_u32 s9, s1, s5
	s_add_u32 s8, s8, 40
	s_addc_u32 s9, s9, 0
	s_mov_b64 s[10:11], 10
	s_mov_b32 s13, 0
	s_mov_b64 s[14:15], s[2:3]
	s_branch .LBB21_61
.LBB21_60:                              ;   in Loop: Header=BB21_61 Depth=1
	s_lshl_b64 s[16:17], s[34:35], 3
	s_delay_alu instid0(SALU_CYCLE_1) | instskip(SKIP_2) | instid1(SALU_CYCLE_1)
	s_add_u32 s16, s2, s16
	s_addc_u32 s17, s3, s17
	s_lshl_b64 s[24:25], s[34:35], 2
	s_add_u32 s24, s40, s24
	s_addc_u32 s25, s41, s25
	s_add_u32 s10, s10, 1
	s_addc_u32 s11, s11, 0
	;; [unrolled: 2-line block ×4, first 2 shown]
	s_cmp_lt_i32 s10, s44
	s_waitcnt vmcnt(1)
	global_store_b64 v5, v[1:2], s[16:17]
	s_waitcnt vmcnt(0)
	global_store_b32 v5, v6, s[24:25]
	s_cbranch_scc0 .LBB21_67
.LBB21_61:                              ; =>This Loop Header: Depth=1
                                        ;     Child Loop BB21_63 Depth 2
	s_mov_b32 s12, s10
	s_mov_b64 s[30:31], s[8:9]
	s_lshl_b64 s[16:17], s[12:13], 3
	s_mov_b64 s[34:35], s[12:13]
	s_add_u32 s16, s2, s16
	s_addc_u32 s17, s3, s17
	s_lshl_b64 s[24:25], s[12:13], 2
	s_delay_alu instid0(SALU_CYCLE_1)
	s_add_u32 s24, s40, s24
	s_addc_u32 s25, s41, s25
	s_clause 0x1
	global_load_b64 v[1:2], v5, s[16:17]
	global_load_b32 v6, v5, s[24:25]
	s_cmp_lt_u32 s10, 10
	s_mov_b64 s[24:25], s[14:15]
	s_mov_b64 s[16:17], s[10:11]
	s_cbranch_scc0 .LBB21_63
	s_branch .LBB21_60
	.p2align	6
.LBB21_62:                              ;   in Loop: Header=BB21_63 Depth=2
	global_load_b32 v7, v5, s[30:31] offset:-40
	s_add_u32 s34, s30, 0xffffffd8
	s_addc_u32 s35, s31, -1
	s_add_u32 s38, s16, -10
	s_addc_u32 s39, s17, -1
	global_store_b64 v5, v[3:4], s[24:25] offset:80
	s_add_u32 s24, s24, 0xffffffb0
	s_addc_u32 s25, s25, -1
	s_cmp_lt_i32 s16, 20
	s_mov_b32 s12, 0
	s_mov_b64 s[16:17], s[38:39]
	s_cselect_b32 s33, -1, 0
	s_waitcnt vmcnt(0)
	global_store_b32 v5, v7, s[30:31]
	s_mov_b64 s[30:31], s[34:35]
                                        ; implicit-def: $sgpr34_sgpr35
	s_and_not1_b32 vcc_lo, exec_lo, s33
	s_cbranch_vccz .LBB21_65
.LBB21_63:                              ;   Parent Loop BB21_61 Depth=1
                                        ; =>  This Inner Loop Header: Depth=2
	global_load_b64 v[3:4], v5, s[24:25]
	s_mov_b32 s12, -1
	s_waitcnt vmcnt(0)
	v_cmp_ngt_f64_e32 vcc_lo, v[3:4], v[1:2]
	s_cbranch_vccz .LBB21_62
; %bb.64:                               ;   in Loop: Header=BB21_61 Depth=1
	s_mov_b64 s[34:35], s[16:17]
                                        ; implicit-def: $sgpr30_sgpr31
                                        ; implicit-def: $sgpr24_sgpr25
                                        ; implicit-def: $sgpr38_sgpr39
.LBB21_65:                              ;   in Loop: Header=BB21_61 Depth=1
	s_and_not1_b32 vcc_lo, exec_lo, s12
	s_cbranch_vccz .LBB21_60
; %bb.66:                               ;   in Loop: Header=BB21_61 Depth=1
	s_bfe_i64 s[34:35], s[38:39], 0x200000
	s_branch .LBB21_60
.LBB21_67:
	s_cmp_lt_i32 s44, 5
	s_cbranch_scc1 .LBB21_76
; %bb.68:
	s_add_u32 s8, s0, s4
	s_addc_u32 s9, s1, s5
	s_add_u32 s8, s8, 16
	s_addc_u32 s9, s9, 0
	s_add_u32 s10, s22, s6
	v_mov_b32_e32 v5, 0
	s_addc_u32 s11, s23, s7
	s_add_u32 s10, s10, 32
	s_addc_u32 s11, s11, 0
	s_mov_b64 s[12:13], 4
	s_mov_b32 s15, 0
	s_branch .LBB21_70
.LBB21_69:                              ;   in Loop: Header=BB21_70 Depth=1
	s_lshl_b64 s[16:17], s[34:35], 3
	s_delay_alu instid0(SALU_CYCLE_1) | instskip(SKIP_2) | instid1(SALU_CYCLE_1)
	s_add_u32 s16, s2, s16
	s_addc_u32 s17, s3, s17
	s_lshl_b64 s[24:25], s[34:35], 2
	s_add_u32 s24, s40, s24
	s_addc_u32 s25, s41, s25
	s_add_u32 s12, s12, 1
	s_addc_u32 s13, s13, 0
	;; [unrolled: 2-line block ×4, first 2 shown]
	s_cmp_lt_i32 s12, s44
	s_waitcnt vmcnt(1)
	global_store_b64 v5, v[1:2], s[16:17]
	s_waitcnt vmcnt(0)
	global_store_b32 v5, v6, s[24:25]
	s_cbranch_scc0 .LBB21_76
.LBB21_70:                              ; =>This Loop Header: Depth=1
                                        ;     Child Loop BB21_72 Depth 2
	s_mov_b32 s14, s12
	s_mov_b64 s[30:31], s[10:11]
	s_lshl_b64 s[16:17], s[14:15], 3
	s_mov_b64 s[34:35], s[14:15]
	s_add_u32 s16, s2, s16
	s_addc_u32 s17, s3, s17
	s_lshl_b64 s[24:25], s[14:15], 2
	s_delay_alu instid0(SALU_CYCLE_1)
	s_add_u32 s24, s40, s24
	s_addc_u32 s25, s41, s25
	s_clause 0x1
	global_load_b64 v[1:2], v5, s[16:17]
	global_load_b32 v6, v5, s[24:25]
	s_cmp_lt_u32 s12, 4
	s_mov_b64 s[24:25], s[8:9]
	s_mov_b64 s[16:17], s[12:13]
	s_cbranch_scc0 .LBB21_72
	s_branch .LBB21_69
	.p2align	6
.LBB21_71:                              ;   in Loop: Header=BB21_72 Depth=2
	global_load_b32 v7, v5, s[24:25] offset:-16
	s_add_u32 s48, s24, -16
	s_addc_u32 s49, s25, -1
	s_add_u32 s38, s16, -4
	s_addc_u32 s39, s17, -1
	s_cmp_lt_i32 s16, 8
	s_mov_b32 s14, 0
	s_mov_b64 s[16:17], s[38:39]
	s_cselect_b32 s33, -1, 0
	global_store_b64 v5, v[3:4], s[30:31]
	s_waitcnt vmcnt(0)
	global_store_b32 v5, v7, s[24:25]
	s_mov_b64 s[24:25], s[48:49]
	s_mov_b64 s[30:31], s[34:35]
                                        ; implicit-def: $sgpr34_sgpr35
	s_and_not1_b32 vcc_lo, exec_lo, s33
	s_cbranch_vccz .LBB21_74
.LBB21_72:                              ;   Parent Loop BB21_70 Depth=1
                                        ; =>  This Inner Loop Header: Depth=2
	global_load_b64 v[3:4], v5, s[30:31] offset:-32
	s_add_u32 s34, s30, 0xffffffe0
	s_addc_u32 s35, s31, -1
	s_mov_b32 s14, -1
	s_waitcnt vmcnt(0)
	v_cmp_ngt_f64_e32 vcc_lo, v[3:4], v[1:2]
	s_cbranch_vccz .LBB21_71
; %bb.73:                               ;   in Loop: Header=BB21_70 Depth=1
	s_mov_b64 s[34:35], s[16:17]
                                        ; implicit-def: $sgpr24_sgpr25
                                        ; implicit-def: $sgpr30_sgpr31
                                        ; implicit-def: $sgpr38_sgpr39
.LBB21_74:                              ;   in Loop: Header=BB21_70 Depth=1
	s_and_not1_b32 vcc_lo, exec_lo, s14
	s_cbranch_vccz .LBB21_69
; %bb.75:                               ;   in Loop: Header=BB21_70 Depth=1
	s_bfe_i64 s[34:35], s[38:39], 0x200000
	s_branch .LBB21_69
.LBB21_76:
	s_cmp_lt_i32 s44, 2
	s_cbranch_scc1 .LBB21_85
; %bb.77:
	s_add_u32 s0, s0, s4
	s_addc_u32 s1, s1, s5
	s_add_u32 s0, s0, 4
	s_addc_u32 s1, s1, 0
	s_add_u32 s4, s22, s6
	v_mov_b32_e32 v5, 0
	s_addc_u32 s5, s23, s7
	s_add_u32 s4, s4, 8
	s_addc_u32 s5, s5, 0
	s_mov_b64 s[6:7], 1
	s_mov_b32 s9, 0
	s_branch .LBB21_79
.LBB21_78:                              ;   in Loop: Header=BB21_79 Depth=1
	s_lshl_b64 s[12:13], s[10:11], 3
	s_delay_alu instid0(SALU_CYCLE_1) | instskip(SKIP_2) | instid1(SALU_CYCLE_1)
	s_add_u32 s12, s2, s12
	s_addc_u32 s13, s3, s13
	s_lshl_b64 s[10:11], s[10:11], 2
	s_add_u32 s10, s40, s10
	s_addc_u32 s11, s41, s11
	s_add_u32 s6, s6, 1
	s_addc_u32 s7, s7, 0
	;; [unrolled: 2-line block ×4, first 2 shown]
	s_cmp_ge_i32 s6, s44
	s_clause 0x1
	global_store_b64 v5, v[1:2], s[12:13]
	global_store_b32 v5, v6, s[10:11]
	s_cbranch_scc1 .LBB21_85
.LBB21_79:                              ; =>This Loop Header: Depth=1
                                        ;     Child Loop BB21_81 Depth 2
	s_mov_b32 s8, s6
	s_mov_b64 s[14:15], s[4:5]
	s_lshl_b64 s[10:11], s[8:9], 3
	s_delay_alu instid0(SALU_CYCLE_1) | instskip(SKIP_2) | instid1(SALU_CYCLE_1)
	s_add_u32 s10, s2, s10
	s_addc_u32 s11, s3, s11
	s_lshl_b64 s[12:13], s[8:9], 2
	s_add_u32 s12, s40, s12
	s_addc_u32 s13, s41, s13
	s_clause 0x1
	global_load_b64 v[1:2], v5, s[10:11]
	global_load_b32 v6, v5, s[12:13]
	s_mov_b64 s[12:13], s[0:1]
	s_mov_b64 s[10:11], s[6:7]
	s_branch .LBB21_81
	.p2align	6
.LBB21_80:                              ;   in Loop: Header=BB21_81 Depth=2
	global_load_b32 v7, v5, s[12:13] offset:-4
	s_add_u32 s30, s12, -4
	s_addc_u32 s31, s13, -1
	s_add_u32 s16, s10, -1
	s_addc_u32 s17, s11, -1
	s_cmp_lt_i32 s10, 2
	s_mov_b32 s8, 0
	s_mov_b64 s[10:11], s[16:17]
	s_cselect_b32 s24, -1, 0
	global_store_b64 v5, v[3:4], s[14:15]
	s_waitcnt vmcnt(0)
	global_store_b32 v5, v7, s[12:13]
	s_mov_b64 s[12:13], s[30:31]
	s_mov_b64 s[14:15], s[22:23]
	s_and_not1_b32 vcc_lo, exec_lo, s24
	s_cbranch_vccz .LBB21_83
.LBB21_81:                              ;   Parent Loop BB21_79 Depth=1
                                        ; =>  This Inner Loop Header: Depth=2
	global_load_b64 v[3:4], v5, s[14:15] offset:-8
	s_add_u32 s22, s14, -8
	s_addc_u32 s23, s15, -1
	s_mov_b32 s8, -1
	s_waitcnt vmcnt(0)
	v_cmp_ngt_f64_e32 vcc_lo, v[3:4], v[1:2]
	s_cbranch_vccz .LBB21_80
; %bb.82:                               ;   in Loop: Header=BB21_79 Depth=1
                                        ; implicit-def: $sgpr12_sgpr13
                                        ; implicit-def: $sgpr14_sgpr15
                                        ; implicit-def: $sgpr16_sgpr17
.LBB21_83:                              ;   in Loop: Header=BB21_79 Depth=1
	s_and_not1_b32 vcc_lo, exec_lo, s8
	s_cbranch_vccz .LBB21_78
; %bb.84:                               ;   in Loop: Header=BB21_79 Depth=1
	s_bfe_i64 s[10:11], s[16:17], 0x200000
	s_branch .LBB21_78
.LBB21_85:
	s_or_b32 exec_lo, exec_lo, s29
	s_cmp_lt_i32 s44, 2
	s_mov_b32 s35, 0
	s_cselect_b32 s5, -1, 0
	s_waitcnt_vscnt null, 0x0
	s_and_b32 vcc_lo, exec_lo, s5
	s_barrier
	buffer_gl0_inv
	s_cbranch_vccnz .LBB21_93
; %bb.86:
	s_add_i32 s4, s44, -1
	s_mov_b32 s5, -1
	s_mov_b32 s0, 0
	s_mov_b32 s1, exec_lo
	v_cmpx_gt_u32_e64 s4, v0
	s_cbranch_execz .LBB21_95
; %bb.87:
	v_dual_mov_b32 v2, 0 :: v_dual_mov_b32 v1, v0
	s_add_u32 s5, s2, 8
	s_addc_u32 s8, s3, 0
	s_mov_b32 s6, 0
                                        ; implicit-def: $sgpr7
	s_set_inst_prefetch_distance 0x1
	s_branch .LBB21_89
	.p2align	6
.LBB21_88:                              ;   in Loop: Header=BB21_89 Depth=1
	s_or_b32 exec_lo, exec_lo, s11
	s_xor_b32 s0, s0, -1
	s_and_b32 s9, exec_lo, s10
	s_delay_alu instid0(SALU_CYCLE_1) | instskip(SKIP_2) | instid1(SALU_CYCLE_1)
	s_or_b32 s6, s9, s6
	s_and_not1_b32 s7, s7, exec_lo
	s_and_b32 s0, s0, exec_lo
	s_or_b32 s7, s7, s0
	s_and_not1_b32 exec_lo, exec_lo, s6
	s_cbranch_execz .LBB21_94
.LBB21_89:                              ; =>This Inner Loop Header: Depth=1
	v_lshlrev_b64 v[3:4], 3, v[1:2]
	s_mov_b32 s10, exec_lo
                                        ; implicit-def: $sgpr0
	s_delay_alu instid0(VALU_DEP_1) | instskip(NEXT) | instid1(VALU_DEP_2)
	v_add_co_u32 v3, vcc_lo, s2, v3
	v_add_co_ci_u32_e32 v4, vcc_lo, s3, v4, vcc_lo
	global_load_b64 v[3:4], v[3:4], off
	s_waitcnt vmcnt(0)
	v_cmp_u_f64_e64 s9, v[3:4], v[3:4]
	v_cmpx_o_f64_e32 v[3:4], v[3:4]
	s_cbranch_execz .LBB21_91
; %bb.90:                               ;   in Loop: Header=BB21_89 Depth=1
	v_ashrrev_i32_e32 v6, 31, v1
	v_mov_b32_e32 v5, v1
	s_delay_alu instid0(VALU_DEP_4) | instskip(NEXT) | instid1(VALU_DEP_1)
	s_and_not1_b32 s9, s9, exec_lo
	v_lshlrev_b64 v[5:6], 3, v[5:6]
	s_delay_alu instid0(VALU_DEP_1) | instskip(NEXT) | instid1(VALU_DEP_2)
	v_add_co_u32 v5, vcc_lo, s5, v5
	v_add_co_ci_u32_e32 v6, vcc_lo, s8, v6, vcc_lo
	global_load_b64 v[5:6], v[5:6], off
	s_waitcnt vmcnt(0)
	v_cmp_u_f64_e32 vcc_lo, v[5:6], v[5:6]
	v_cmp_le_f64_e64 s0, v[3:4], v[5:6]
	s_delay_alu instid0(VALU_DEP_1) | instskip(NEXT) | instid1(SALU_CYCLE_1)
	s_or_b32 s0, vcc_lo, s0
	s_and_b32 s11, s0, exec_lo
	s_mov_b32 s0, -1
	s_or_b32 s9, s9, s11
.LBB21_91:                              ;   in Loop: Header=BB21_89 Depth=1
	s_or_b32 exec_lo, exec_lo, s10
	s_mov_b32 s10, -1
	s_delay_alu instid0(VALU_DEP_2)
	s_and_saveexec_b32 s11, s9
	s_cbranch_execz .LBB21_88
; %bb.92:                               ;   in Loop: Header=BB21_89 Depth=1
	v_add_nc_u32_e32 v1, s46, v1
	s_and_not1_b32 s0, s0, exec_lo
	s_delay_alu instid0(VALU_DEP_1)
	v_cmp_le_u32_e32 vcc_lo, s4, v1
	s_or_not1_b32 s10, vcc_lo, exec_lo
	s_branch .LBB21_88
.LBB21_93:
	s_mov_b32 s0, 0
	s_and_saveexec_b32 s1, s5
	s_cbranch_execnz .LBB21_96
	s_branch .LBB21_97
.LBB21_94:
	s_set_inst_prefetch_distance 0x2
	s_or_b32 exec_lo, exec_lo, s6
	s_delay_alu instid0(SALU_CYCLE_1)
	s_mov_b32 s0, exec_lo
	s_or_not1_b32 s5, s7, exec_lo
.LBB21_95:
	s_or_b32 exec_lo, exec_lo, s1
	s_and_saveexec_b32 s1, s5
	s_cbranch_execz .LBB21_97
.LBB21_96:
	s_mov_b32 s35, exec_lo
	s_barrier
	s_and_not1_b32 s0, s0, exec_lo
	buffer_gl0_inv
.LBB21_97:
	s_or_b32 exec_lo, exec_lo, s1
	s_mov_b32 s17, 0
	s_mov_b32 s29, 0
	s_and_saveexec_b32 s1, s0
	s_delay_alu instid0(SALU_CYCLE_1)
	s_xor_b32 s22, exec_lo, s1
	s_cbranch_execz .LBB21_99
; %bb.98:
	s_add_u32 s8, s18, 0x58
	s_addc_u32 s9, s19, 0
	s_getpc_b64 s[0:1]
	s_add_u32 s0, s0, .str.5@rel32@lo+4
	s_addc_u32 s1, s1, .str.5@rel32@hi+12
	s_getpc_b64 s[2:3]
	s_add_u32 s2, s2, .str.6@rel32@lo+4
	s_addc_u32 s3, s3, .str.6@rel32@hi+12
	s_getpc_b64 s[4:5]
	s_add_u32 s4, s4, __PRETTY_FUNCTION__._ZN9rocsolver6v33100L20shell_sort_ascendingIdiEEvT0_PT_PS2_@rel32@lo+4
	s_addc_u32 s5, s5, __PRETTY_FUNCTION__._ZN9rocsolver6v33100L20shell_sort_ascendingIdiEEvT0_PT_PS2_@rel32@hi+12
	v_dual_mov_b32 v0, s0 :: v_dual_mov_b32 v1, s1
	v_dual_mov_b32 v2, s2 :: v_dual_mov_b32 v3, s3
	;; [unrolled: 1-line block ×3, first 2 shown]
	v_mov_b32_e32 v6, s5
	s_getpc_b64 s[6:7]
	s_add_u32 s6, s6, __assert_fail@rel32@lo+4
	s_addc_u32 s7, s7, __assert_fail@rel32@hi+12
	s_delay_alu instid0(SALU_CYCLE_1)
	s_swappc_b64 s[30:31], s[6:7]
	s_mov_b32 s29, exec_lo
                                        ; implicit-def: $vgpr0
.LBB21_99:
	s_or_b32 exec_lo, exec_lo, s22
	s_delay_alu instid0(SALU_CYCLE_1)
	s_and_b32 vcc_lo, exec_lo, s17
	s_cbranch_vccz .LBB21_21
.LBB21_100:
	v_add3_u32 v0, v43, v42, v41
	s_or_b32 s35, s35, exec_lo
	s_delay_alu instid0(SALU_CYCLE_1)
	s_and_saveexec_b32 s17, s35
	s_cbranch_execz .LBB21_131
.LBB21_101:
	s_cmp_lt_i32 s44, 1
	s_waitcnt_vscnt null, 0x0
	s_barrier
	buffer_gl0_inv
	s_cbranch_scc1 .LBB21_120
; %bb.102:
	s_load_b64 s[6:7], s[18:19], 0x28
	s_mul_i32 s2, s28, s37
	s_mul_hi_u32 s3, s28, s36
	s_mul_i32 s8, s28, s36
	s_add_i32 s9, s3, s2
	v_cmp_eq_u32_e64 s0, 0, v0
	s_lshl_b64 s[8:9], s[8:9], 3
	v_cmp_gt_i32_e64 s1, s43, v0
	v_cmp_gt_i32_e64 s2, s45, v0
	v_mov_b32_e32 v4, 0
	s_mov_b32 s5, 0
	s_waitcnt lgkmcnt(0)
	s_ashr_i32 s11, s6, 31
	s_mov_b32 s10, s6
	s_add_u32 s3, s26, s8
	s_addc_u32 s4, s27, s9
	s_lshl_b64 s[8:9], s[10:11], 3
	s_mov_b32 s13, s7
	s_add_u32 s3, s3, s8
	s_addc_u32 s12, s4, s9
	s_cmp_lg_u64 s[20:21], 0
	s_mov_b32 s4, s5
	s_cselect_b32 s14, -1, 0
	s_branch .LBB21_104
.LBB21_103:                             ;   in Loop: Header=BB21_104 Depth=1
	s_add_i32 s4, s4, 1
	s_delay_alu instid0(SALU_CYCLE_1)
	s_cmp_eq_u32 s4, s44
	s_cbranch_scc1 .LBB21_120
.LBB21_104:                             ; =>This Loop Header: Depth=1
                                        ;     Child Loop BB21_107 Depth 2
                                        ;       Child Loop BB21_111 Depth 3
                                        ;       Child Loop BB21_116 Depth 3
	s_lshl_b64 s[6:7], s[4:5], 2
	s_delay_alu instid0(SALU_CYCLE_1)
	s_add_u32 s6, s40, s6
	s_addc_u32 s7, s41, s7
	s_barrier
	buffer_gl0_inv
	global_load_b32 v1, v4, s[6:7]
	s_waitcnt vmcnt(0)
	v_cmp_eq_u32_e32 vcc_lo, s4, v1
	v_readfirstlane_b32 s8, v1
	s_cbranch_vccz .LBB21_107
	s_branch .LBB21_103
.LBB21_105:                             ;   in Loop: Header=BB21_107 Depth=2
	s_set_inst_prefetch_distance 0x2
	s_or_b32 exec_lo, exec_lo, s10
	s_waitcnt lgkmcnt(0)
	s_waitcnt_vscnt null, 0x0
	s_barrier
	buffer_gl0_inv
.LBB21_106:                             ;   in Loop: Header=BB21_107 Depth=2
	global_load_b32 v1, v4, s[6:7]
	s_waitcnt vmcnt(0)
	v_cmp_ne_u32_e32 vcc_lo, s4, v1
	v_readfirstlane_b32 s8, v1
	s_cbranch_vccz .LBB21_103
.LBB21_107:                             ;   Parent Loop BB21_104 Depth=1
                                        ; =>  This Loop Header: Depth=2
                                        ;       Child Loop BB21_111 Depth 3
                                        ;       Child Loop BB21_116 Depth 3
	s_delay_alu instid0(VALU_DEP_1) | instskip(NEXT) | instid1(SALU_CYCLE_1)
	s_ashr_i32 s9, s8, 31
	s_lshl_b64 s[10:11], s[8:9], 2
	s_delay_alu instid0(SALU_CYCLE_1)
	s_add_u32 s10, s40, s10
	s_addc_u32 s11, s41, s11
	global_load_b32 v1, v4, s[10:11]
	s_waitcnt vmcnt(0)
	s_barrier
	buffer_gl0_inv
	v_readfirstlane_b32 s9, v1
	s_and_saveexec_b32 s15, s0
; %bb.108:                              ;   in Loop: Header=BB21_107 Depth=2
	s_delay_alu instid0(VALU_DEP_1)
	v_dual_mov_b32 v1, s8 :: v_dual_mov_b32 v2, s9
	s_clause 0x1
	global_store_b32 v4, v1, s[10:11]
	global_store_b32 v4, v2, s[6:7]
; %bb.109:                              ;   in Loop: Header=BB21_107 Depth=2
	s_or_b32 exec_lo, exec_lo, s15
	s_waitcnt_vscnt null, 0x0
	s_barrier
	buffer_gl0_inv
	s_barrier
	buffer_gl0_inv
	s_and_saveexec_b32 s10, s1
	s_cbranch_execz .LBB21_112
; %bb.110:                              ;   in Loop: Header=BB21_107 Depth=2
	s_mul_hi_i32 s23, s8, s13
	s_mul_i32 s22, s8, s13
	s_mul_hi_i32 s25, s9, s13
	s_lshl_b64 s[22:23], s[22:23], 3
	s_mul_i32 s24, s9, s13
	s_add_u32 s11, s3, s22
	s_addc_u32 s15, s12, s23
	s_lshl_b64 s[22:23], s[24:25], 3
	v_mov_b32_e32 v1, v0
	s_add_u32 s16, s3, s22
	s_addc_u32 s22, s12, s23
	s_mov_b32 s23, 0
	.p2align	6
.LBB21_111:                             ;   Parent Loop BB21_104 Depth=1
                                        ;     Parent Loop BB21_107 Depth=2
                                        ; =>    This Inner Loop Header: Depth=3
	s_delay_alu instid0(VALU_DEP_1) | instskip(NEXT) | instid1(VALU_DEP_1)
	v_ashrrev_i32_e32 v2, 31, v1
	v_lshlrev_b64 v[2:3], 3, v[1:2]
	v_add_nc_u32_e32 v1, s42, v1
	s_delay_alu instid0(VALU_DEP_2) | instskip(NEXT) | instid1(VALU_DEP_3)
	v_add_co_u32 v5, vcc_lo, s16, v2
	v_add_co_ci_u32_e32 v6, vcc_lo, s22, v3, vcc_lo
	v_add_co_u32 v2, vcc_lo, s11, v2
	v_add_co_ci_u32_e32 v3, vcc_lo, s15, v3, vcc_lo
	v_cmp_le_i32_e32 vcc_lo, s43, v1
	s_clause 0x1
	global_load_b64 v[7:8], v[5:6], off
	global_load_b64 v[9:10], v[2:3], off
	s_waitcnt vmcnt(1)
	global_store_b64 v[2:3], v[7:8], off
	s_waitcnt vmcnt(0)
	global_store_b64 v[5:6], v[9:10], off
	s_or_b32 s23, vcc_lo, s23
	s_delay_alu instid0(SALU_CYCLE_1)
	s_and_not1_b32 exec_lo, exec_lo, s23
	s_cbranch_execnz .LBB21_111
.LBB21_112:                             ;   in Loop: Header=BB21_107 Depth=2
	s_or_b32 exec_lo, exec_lo, s10
	s_delay_alu instid0(SALU_CYCLE_1)
	s_and_b32 vcc_lo, exec_lo, s14
	s_waitcnt_vscnt null, 0x0
	s_barrier
	buffer_gl0_inv
	s_cbranch_vccz .LBB21_106
; %bb.113:                              ;   in Loop: Header=BB21_107 Depth=2
	s_barrier
	buffer_gl0_inv
	s_and_saveexec_b32 s10, s2
	s_cbranch_execz .LBB21_105
; %bb.114:                              ;   in Loop: Header=BB21_107 Depth=2
	v_mov_b32_e32 v1, v0
	s_add_i32 s8, s8, 1
	s_add_i32 s9, s9, 1
	s_mov_b32 s11, 0
	s_set_inst_prefetch_distance 0x1
	s_branch .LBB21_116
	.p2align	6
.LBB21_115:                             ;   in Loop: Header=BB21_116 Depth=3
	s_or_b32 exec_lo, exec_lo, s16
	v_add_nc_u32_e32 v1, s42, v1
	s_delay_alu instid0(VALU_DEP_1) | instskip(SKIP_1) | instid1(SALU_CYCLE_1)
	v_cmp_le_i32_e32 vcc_lo, s45, v1
	s_or_b32 s11, vcc_lo, s11
	s_and_not1_b32 exec_lo, exec_lo, s11
	s_cbranch_execz .LBB21_105
.LBB21_116:                             ;   Parent Loop BB21_104 Depth=1
                                        ;     Parent Loop BB21_107 Depth=2
                                        ; =>    This Inner Loop Header: Depth=3
	v_ashrrev_i32_e32 v2, 31, v1
	v_mov_b32_e32 v5, s9
	s_mov_b32 s16, exec_lo
	s_delay_alu instid0(VALU_DEP_2) | instskip(NEXT) | instid1(VALU_DEP_1)
	v_lshlrev_b64 v[2:3], 2, v[1:2]
	v_add_co_u32 v2, vcc_lo, s20, v2
	s_delay_alu instid0(VALU_DEP_2)
	v_add_co_ci_u32_e32 v3, vcc_lo, s21, v3, vcc_lo
	flat_load_b32 v6, v[2:3]
	s_waitcnt vmcnt(0) lgkmcnt(0)
	v_cmp_eq_u32_e64 s15, s8, v6
	v_cmpx_ne_u32_e64 s8, v6
; %bb.117:                              ;   in Loop: Header=BB21_116 Depth=3
	v_cmp_eq_u32_e32 vcc_lo, s9, v6
	v_mov_b32_e32 v5, s8
	s_delay_alu instid0(VALU_DEP_4) | instskip(SKIP_1) | instid1(SALU_CYCLE_1)
	s_and_not1_b32 s15, s15, exec_lo
	s_and_b32 s22, vcc_lo, exec_lo
	s_or_b32 s15, s15, s22
; %bb.118:                              ;   in Loop: Header=BB21_116 Depth=3
	s_or_b32 exec_lo, exec_lo, s16
	s_and_saveexec_b32 s16, s15
	s_cbranch_execz .LBB21_115
; %bb.119:                              ;   in Loop: Header=BB21_116 Depth=3
	flat_store_b32 v[2:3], v5
	s_branch .LBB21_115
.LBB21_120:
	s_mov_b32 s2, -1
	s_mov_b32 s1, 0
	s_mov_b32 s0, exec_lo
	s_barrier
	buffer_gl0_inv
	v_cmpx_gt_u32_e64 s44, v0
	s_cbranch_execz .LBB21_126
; %bb.121:
	v_mov_b32_e32 v1, 0
                                        ; implicit-def: $sgpr2
                                        ; implicit-def: $sgpr4
                                        ; implicit-def: $sgpr3
	s_set_inst_prefetch_distance 0x1
	s_branch .LBB21_123
	.p2align	6
.LBB21_122:                             ;   in Loop: Header=BB21_123 Depth=1
	s_or_b32 exec_lo, exec_lo, s5
	s_xor_b32 s5, s3, -1
	s_and_b32 s6, exec_lo, s4
	s_delay_alu instid0(SALU_CYCLE_1) | instskip(SKIP_2) | instid1(SALU_CYCLE_1)
	s_or_b32 s1, s6, s1
	s_and_not1_b32 s2, s2, exec_lo
	s_and_b32 s5, s5, exec_lo
	s_or_b32 s2, s2, s5
	s_and_not1_b32 exec_lo, exec_lo, s1
	s_cbranch_execz .LBB21_125
.LBB21_123:                             ; =>This Inner Loop Header: Depth=1
	s_delay_alu instid0(VALU_DEP_1) | instskip(SKIP_3) | instid1(VALU_DEP_1)
	v_lshlrev_b64 v[2:3], 2, v[0:1]
	s_or_b32 s3, s3, exec_lo
	s_or_b32 s4, s4, exec_lo
	s_mov_b32 s5, exec_lo
	v_add_co_u32 v2, vcc_lo, s40, v2
	s_delay_alu instid0(VALU_DEP_2)
	v_add_co_ci_u32_e32 v3, vcc_lo, s41, v3, vcc_lo
	global_load_b32 v2, v[2:3], off
	s_waitcnt vmcnt(0)
	v_cmpx_eq_u32_e64 v0, v2
	s_cbranch_execz .LBB21_122
; %bb.124:                              ;   in Loop: Header=BB21_123 Depth=1
	v_add_nc_u32_e32 v0, s42, v0
	s_and_not1_b32 s4, s4, exec_lo
	s_and_not1_b32 s3, s3, exec_lo
	s_delay_alu instid0(VALU_DEP_1) | instskip(SKIP_1) | instid1(SALU_CYCLE_1)
	v_cmp_le_u32_e32 vcc_lo, s44, v0
	s_and_b32 s6, vcc_lo, exec_lo
	s_or_b32 s4, s4, s6
	s_branch .LBB21_122
.LBB21_125:
	s_set_inst_prefetch_distance 0x2
	s_or_b32 exec_lo, exec_lo, s1
	s_delay_alu instid0(SALU_CYCLE_1)
	s_mov_b32 s1, exec_lo
	s_or_not1_b32 s2, s2, exec_lo
.LBB21_126:
	s_or_b32 exec_lo, exec_lo, s0
	s_and_saveexec_b32 s0, s2
	s_cbranch_execz .LBB21_128
; %bb.127:
	s_barrier
	buffer_gl0_inv
	s_barrier
	s_and_not1_b32 s1, s1, exec_lo
	buffer_gl0_inv
.LBB21_128:
	s_or_b32 exec_lo, exec_lo, s0
	s_mov_b32 s0, s29
	s_and_saveexec_b32 s2, s1
	s_delay_alu instid0(SALU_CYCLE_1)
	s_xor_b32 s20, exec_lo, s2
	s_cbranch_execz .LBB21_130
; %bb.129:
	s_add_u32 s8, s18, 0x58
	s_addc_u32 s9, s19, 0
	s_getpc_b64 s[0:1]
	s_add_u32 s0, s0, .str.8@rel32@lo+4
	s_addc_u32 s1, s1, .str.8@rel32@hi+12
	s_getpc_b64 s[2:3]
	s_add_u32 s2, s2, .str.3@rel32@lo+4
	s_addc_u32 s3, s3, .str.3@rel32@hi+12
	s_getpc_b64 s[4:5]
	s_add_u32 s4, s4, __PRETTY_FUNCTION__._ZN9rocsolver6v33100L18syevx_permute_swapIdEEviiiPiPT_iS2_@rel32@lo+4
	s_addc_u32 s5, s5, __PRETTY_FUNCTION__._ZN9rocsolver6v33100L18syevx_permute_swapIdEEviiiPiPT_iS2_@rel32@hi+12
	v_dual_mov_b32 v0, s0 :: v_dual_mov_b32 v1, s1
	v_dual_mov_b32 v2, s2 :: v_dual_mov_b32 v3, s3
	;; [unrolled: 1-line block ×3, first 2 shown]
	v_mov_b32_e32 v6, s5
	s_getpc_b64 s[6:7]
	s_add_u32 s6, s6, __assert_fail@rel32@lo+4
	s_addc_u32 s7, s7, __assert_fail@rel32@hi+12
	s_delay_alu instid0(SALU_CYCLE_1)
	s_swappc_b64 s[30:31], s[6:7]
	s_or_b32 s0, s29, exec_lo
.LBB21_130:
	s_or_b32 exec_lo, exec_lo, s20
	s_delay_alu instid0(SALU_CYCLE_1) | instskip(SKIP_1) | instid1(SALU_CYCLE_1)
	s_and_not1_b32 s1, s29, exec_lo
	s_and_b32 s0, s0, exec_lo
	s_or_b32 s29, s1, s0
.LBB21_131:
	s_or_b32 exec_lo, exec_lo, s17
	s_branch .LBB21_133
.LBB21_132:
	s_add_u32 s8, s18, 0x58
	s_addc_u32 s9, s19, 0
	s_getpc_b64 s[0:1]
	s_add_u32 s0, s0, .str.4@rel32@lo+4
	s_addc_u32 s1, s1, .str.4@rel32@hi+12
	s_getpc_b64 s[2:3]
	s_add_u32 s2, s2, .str.3@rel32@lo+4
	s_addc_u32 s3, s3, .str.3@rel32@hi+12
	s_getpc_b64 s[4:5]
	s_add_u32 s4, s4, __PRETTY_FUNCTION__._ZN9rocsolver6v33100L15syevx_sort_eigsIddPdEEviPiPT0_lT1_iilS3_lS3_S3_@rel32@lo+4
	s_addc_u32 s5, s5, __PRETTY_FUNCTION__._ZN9rocsolver6v33100L15syevx_sort_eigsIddPdEEviPiPT0_lT1_iilS3_lS3_S3_@rel32@hi+12
	v_dual_mov_b32 v0, s0 :: v_dual_mov_b32 v1, s1
	v_dual_mov_b32 v2, s2 :: v_dual_mov_b32 v3, s3
	;; [unrolled: 1-line block ×3, first 2 shown]
	v_mov_b32_e32 v6, s5
	s_getpc_b64 s[6:7]
	s_add_u32 s6, s6, __assert_fail@rel32@lo+4
	s_addc_u32 s7, s7, __assert_fail@rel32@hi+12
	s_delay_alu instid0(SALU_CYCLE_1)
	s_swappc_b64 s[30:31], s[6:7]
	s_or_b32 s29, s29, exec_lo
.LBB21_133:
	s_branch .LBB21_4
.LBB21_134:
	s_add_u32 s8, s18, 0x58
	s_addc_u32 s9, s19, 0
	s_getpc_b64 s[0:1]
	s_add_u32 s0, s0, .str.2@rel32@lo+4
	s_addc_u32 s1, s1, .str.2@rel32@hi+12
	s_getpc_b64 s[2:3]
	s_add_u32 s2, s2, .str.3@rel32@lo+4
	s_addc_u32 s3, s3, .str.3@rel32@hi+12
	s_getpc_b64 s[4:5]
	s_add_u32 s4, s4, __PRETTY_FUNCTION__._ZN9rocsolver6v33100L15syevx_sort_eigsIddPdEEviPiPT0_lT1_iilS3_lS3_S3_@rel32@lo+4
	s_addc_u32 s5, s5, __PRETTY_FUNCTION__._ZN9rocsolver6v33100L15syevx_sort_eigsIddPdEEviPiPT0_lT1_iilS3_lS3_S3_@rel32@hi+12
	v_dual_mov_b32 v0, s0 :: v_dual_mov_b32 v1, s1
	v_dual_mov_b32 v2, s2 :: v_dual_mov_b32 v3, s3
	;; [unrolled: 1-line block ×3, first 2 shown]
	v_mov_b32_e32 v6, s5
	s_getpc_b64 s[6:7]
	s_add_u32 s6, s6, __assert_fail@rel32@lo+4
	s_addc_u32 s7, s7, __assert_fail@rel32@hi+12
	s_delay_alu instid0(SALU_CYCLE_1) | instskip(SKIP_1) | instid1(SALU_CYCLE_1)
	s_swappc_b64 s[30:31], s[6:7]
	s_or_b32 s29, s29, exec_lo
	s_and_saveexec_b32 s0, s29
	s_cbranch_execz .LBB21_5
.LBB21_135:
	; divergent unreachable
	s_endpgm
	.section	.rodata,"a",@progbits
	.p2align	6, 0x0
	.amdhsa_kernel _ZN9rocsolver6v33100L15syevx_sort_eigsIddPdEEviPiPT0_lT1_iilS3_lS3_S3_
		.amdhsa_group_segment_fixed_size 0
		.amdhsa_private_segment_fixed_size 64
		.amdhsa_kernarg_size 344
		.amdhsa_user_sgpr_count 14
		.amdhsa_user_sgpr_dispatch_ptr 0
		.amdhsa_user_sgpr_queue_ptr 0
		.amdhsa_user_sgpr_kernarg_segment_ptr 1
		.amdhsa_user_sgpr_dispatch_id 0
		.amdhsa_user_sgpr_private_segment_size 0
		.amdhsa_wavefront_size32 1
		.amdhsa_uses_dynamic_stack 0
		.amdhsa_enable_private_segment 1
		.amdhsa_system_sgpr_workgroup_id_x 1
		.amdhsa_system_sgpr_workgroup_id_y 1
		.amdhsa_system_sgpr_workgroup_id_z 0
		.amdhsa_system_sgpr_workgroup_info 0
		.amdhsa_system_vgpr_workitem_id 2
		.amdhsa_next_free_vgpr 53
		.amdhsa_next_free_sgpr 50
		.amdhsa_reserve_vcc 1
		.amdhsa_float_round_mode_32 0
		.amdhsa_float_round_mode_16_64 0
		.amdhsa_float_denorm_mode_32 3
		.amdhsa_float_denorm_mode_16_64 3
		.amdhsa_dx10_clamp 1
		.amdhsa_ieee_mode 1
		.amdhsa_fp16_overflow 0
		.amdhsa_workgroup_processor_mode 1
		.amdhsa_memory_ordered 1
		.amdhsa_forward_progress 0
		.amdhsa_shared_vgpr_count 0
		.amdhsa_exception_fp_ieee_invalid_op 0
		.amdhsa_exception_fp_denorm_src 0
		.amdhsa_exception_fp_ieee_div_zero 0
		.amdhsa_exception_fp_ieee_overflow 0
		.amdhsa_exception_fp_ieee_underflow 0
		.amdhsa_exception_fp_ieee_inexact 0
		.amdhsa_exception_int_div_zero 0
	.end_amdhsa_kernel
	.section	.text._ZN9rocsolver6v33100L15syevx_sort_eigsIddPdEEviPiPT0_lT1_iilS3_lS3_S3_,"axG",@progbits,_ZN9rocsolver6v33100L15syevx_sort_eigsIddPdEEviPiPT0_lT1_iilS3_lS3_S3_,comdat
.Lfunc_end21:
	.size	_ZN9rocsolver6v33100L15syevx_sort_eigsIddPdEEviPiPT0_lT1_iilS3_lS3_S3_, .Lfunc_end21-_ZN9rocsolver6v33100L15syevx_sort_eigsIddPdEEviPiPT0_lT1_iilS3_lS3_S3_
                                        ; -- End function
	.section	.AMDGPU.csdata,"",@progbits
; Kernel info:
; codeLenInByte = 5416
; NumSgprs: 52
; NumVgprs: 53
; ScratchSize: 64
; MemoryBound: 0
; FloatMode: 240
; IeeeMode: 1
; LDSByteSize: 0 bytes/workgroup (compile time only)
; SGPRBlocks: 6
; VGPRBlocks: 6
; NumSGPRsForWavesPerEU: 52
; NumVGPRsForWavesPerEU: 53
; Occupancy: 16
; WaveLimiterHint : 1
; COMPUTE_PGM_RSRC2:SCRATCH_EN: 1
; COMPUTE_PGM_RSRC2:USER_SGPR: 14
; COMPUTE_PGM_RSRC2:TRAP_HANDLER: 0
; COMPUTE_PGM_RSRC2:TGID_X_EN: 1
; COMPUTE_PGM_RSRC2:TGID_Y_EN: 1
; COMPUTE_PGM_RSRC2:TGID_Z_EN: 0
; COMPUTE_PGM_RSRC2:TIDIG_COMP_CNT: 2
	.section	.text._ZN9rocsolver6v33100L19bdsvdx_reorder_vectIdPdEEv13rocblas_fill_iPiPT_lT0_iilS6_,"axG",@progbits,_ZN9rocsolver6v33100L19bdsvdx_reorder_vectIdPdEEv13rocblas_fill_iPiPT_lT0_iilS6_,comdat
	.globl	_ZN9rocsolver6v33100L19bdsvdx_reorder_vectIdPdEEv13rocblas_fill_iPiPT_lT0_iilS6_ ; -- Begin function _ZN9rocsolver6v33100L19bdsvdx_reorder_vectIdPdEEv13rocblas_fill_iPiPT_lT0_iilS6_
	.p2align	8
	.type	_ZN9rocsolver6v33100L19bdsvdx_reorder_vectIdPdEEv13rocblas_fill_iPiPT_lT0_iilS6_,@function
_ZN9rocsolver6v33100L19bdsvdx_reorder_vectIdPdEEv13rocblas_fill_iPiPT_lT0_iilS6_: ; @_ZN9rocsolver6v33100L19bdsvdx_reorder_vectIdPdEEv13rocblas_fill_iPiPT_lT0_iilS6_
; %bb.0:
	s_load_b256 s[4:11], s[0:1], 0x8
	s_mov_b32 s16, s15
	s_ashr_i32 s17, s15, 31
	s_delay_alu instid0(SALU_CYCLE_1)
	s_lshl_b64 s[2:3], s[16:17], 2
	s_waitcnt lgkmcnt(0)
	s_add_u32 s2, s4, s2
	s_addc_u32 s3, s5, s3
	s_load_b64 s[4:5], s[0:1], 0x0
	s_load_b32 s18, s[2:3], 0x0
	s_waitcnt lgkmcnt(0)
	s_cmp_le_i32 s18, s5
	s_cbranch_scc1 .LBB22_4
; %bb.1:
	s_mov_b32 s12, exec_lo
	v_cmpx_eq_u32_e32 0, v0
	s_cbranch_execz .LBB22_3
; %bb.2:
	v_dual_mov_b32 v1, 0 :: v_dual_mov_b32 v2, s5
	global_store_b32 v1, v2, s[2:3]
.LBB22_3:
	s_or_b32 exec_lo, exec_lo, s12
	s_mov_b32 s18, s5
.LBB22_4:
	s_load_b128 s[12:15], s[0:1], 0x30
	s_mul_i32 s2, s16, s5
	s_delay_alu instid0(SALU_CYCLE_1) | instskip(NEXT) | instid1(SALU_CYCLE_1)
	s_lshl_b32 s2, s2, 1
	s_ashr_i32 s3, s2, 31
	s_delay_alu instid0(SALU_CYCLE_1)
	s_lshl_b64 s[20:21], s[2:3], 3
	s_waitcnt lgkmcnt(0)
	s_add_u32 s3, s14, s20
	s_addc_u32 s14, s15, s21
	s_mov_b32 s15, exec_lo
	v_cmpx_gt_i32_e64 s18, v0
	s_cbranch_execz .LBB22_7
; %bb.5:
	s_load_b32 s2, s[0:1], 0x4c
	s_mul_i32 s9, s16, s9
	s_mul_hi_u32 s19, s16, s8
	s_mul_i32 s20, s17, s8
	s_add_i32 s9, s19, s9
	s_mul_i32 s8, s16, s8
	s_add_i32 s9, s9, s20
	v_mov_b32_e32 v1, v0
	s_lshl_b64 s[8:9], s[8:9], 3
	s_delay_alu instid0(SALU_CYCLE_1)
	s_add_u32 s6, s6, s8
	s_addc_u32 s7, s7, s9
	s_mov_b32 s9, 0
	s_waitcnt lgkmcnt(0)
	s_and_b32 s8, s2, 0xffff
	.p2align	6
.LBB22_6:                               ; =>This Inner Loop Header: Depth=1
	v_ashrrev_i32_e32 v2, 31, v1
	s_delay_alu instid0(VALU_DEP_1) | instskip(SKIP_1) | instid1(VALU_DEP_2)
	v_lshlrev_b64 v[2:3], 3, v[1:2]
	v_add_nc_u32_e32 v1, s8, v1
	v_add_co_u32 v4, vcc_lo, s3, v2
	s_delay_alu instid0(VALU_DEP_3) | instskip(NEXT) | instid1(VALU_DEP_3)
	v_add_co_ci_u32_e32 v5, vcc_lo, s14, v3, vcc_lo
	v_cmp_le_i32_e32 vcc_lo, s18, v1
	v_add_co_u32 v2, s2, s6, v2
	global_load_b64 v[4:5], v[4:5], off
	v_add_co_ci_u32_e64 v3, s2, s7, v3, s2
	s_or_b32 s9, vcc_lo, s9
	s_waitcnt vmcnt(0)
	v_xor_b32_e32 v5, 0x80000000, v5
	global_store_b64 v[2:3], v[4:5], off
	s_and_not1_b32 exec_lo, exec_lo, s9
	s_cbranch_execnz .LBB22_6
.LBB22_7:
	s_or_b32 exec_lo, exec_lo, s15
	s_cmp_lt_i32 s18, 1
	s_waitcnt_vscnt null, 0x0
	s_barrier
	buffer_gl0_inv
	s_cbranch_scc1 .LBB22_23
; %bb.8:
	s_load_b64 s[6:7], s[0:1], 0x28
	s_mul_i32 s9, s16, s13
	s_mul_hi_u32 s13, s16, s12
	s_mul_i32 s15, s17, s12
	s_add_i32 s9, s13, s9
	s_mul_i32 s8, s16, s12
	s_add_i32 s9, s9, s15
	v_cmp_gt_i32_e64 s2, s5, v0
	s_lshl_b64 s[8:9], s[8:9], 3
	v_lshlrev_b32_e32 v3, 1, v0
	s_mov_b32 s15, 0
	s_mov_b32 s19, s5
	;; [unrolled: 1-line block ×3, first 2 shown]
	s_waitcnt lgkmcnt(0)
	s_ashr_i32 s13, s6, 31
	s_mov_b32 s12, s6
	s_add_u32 s6, s10, s8
	s_addc_u32 s16, s11, s9
	s_lshl_b64 s[10:11], s[12:13], 3
	s_mov_b32 s8, 0x667f3bcd
	s_add_u32 s6, s6, s10
	s_addc_u32 s16, s16, s11
	s_lshl_b32 s17, s5, 1
	s_add_u32 s10, s0, 64
	s_addc_u32 s11, s1, 0
	v_cmp_gt_i32_e64 s0, s17, v0
	s_cmpk_lg_i32 s4, 0x79
	s_mov_b32 s9, 0x3ff6a09e
	s_cselect_b32 s4, -1, 0
	s_mov_b32 s13, 0xbff6a09e
	s_branch .LBB22_11
.LBB22_9:                               ;   in Loop: Header=BB22_11 Depth=1
	s_set_inst_prefetch_distance 0x2
	s_or_b32 exec_lo, exec_lo, s21
.LBB22_10:                              ;   in Loop: Header=BB22_11 Depth=1
	s_add_i32 s20, s20, 1
	s_add_i32 s15, s15, s7
	;; [unrolled: 1-line block ×3, first 2 shown]
	s_cmp_lg_u32 s20, s18
	s_waitcnt_vscnt null, 0x0
	s_barrier
	buffer_gl0_inv
	s_cbranch_scc0 .LBB22_23
.LBB22_11:                              ; =>This Loop Header: Depth=1
                                        ;     Child Loop BB22_13 Depth 2
                                        ;     Child Loop BB22_17 Depth 2
	;; [unrolled: 1-line block ×3, first 2 shown]
	s_and_saveexec_b32 s12, s0
	s_cbranch_execz .LBB22_14
; %bb.12:                               ;   in Loop: Header=BB22_11 Depth=1
	s_load_b32 s1, s[10:11], 0xc
	v_mov_b32_e32 v1, v0
	s_mov_b32 s22, 0
	s_waitcnt lgkmcnt(0)
	s_and_b32 s21, s1, 0xffff
	.p2align	6
.LBB22_13:                              ;   Parent Loop BB22_11 Depth=1
                                        ; =>  This Inner Loop Header: Depth=2
	s_delay_alu instid0(VALU_DEP_1) | instskip(SKIP_1) | instid1(VALU_DEP_2)
	v_add_nc_u32_e32 v4, s15, v1
	v_ashrrev_i32_e32 v2, 31, v1
	v_ashrrev_i32_e32 v5, 31, v4
	s_delay_alu instid0(VALU_DEP_2) | instskip(SKIP_1) | instid1(VALU_DEP_3)
	v_lshlrev_b64 v[6:7], 3, v[1:2]
	v_add_nc_u32_e32 v1, s21, v1
	v_lshlrev_b64 v[4:5], 3, v[4:5]
	s_delay_alu instid0(VALU_DEP_3) | instskip(NEXT) | instid1(VALU_DEP_1)
	v_add_co_u32 v6, s1, s3, v6
	v_add_co_ci_u32_e64 v7, s1, s14, v7, s1
	s_delay_alu instid0(VALU_DEP_3) | instskip(NEXT) | instid1(VALU_DEP_4)
	v_add_co_u32 v4, vcc_lo, s6, v4
	v_add_co_ci_u32_e32 v5, vcc_lo, s16, v5, vcc_lo
	v_cmp_le_i32_e32 vcc_lo, s17, v1
	global_load_b64 v[4:5], v[4:5], off
	s_or_b32 s22, vcc_lo, s22
	s_waitcnt vmcnt(0)
	global_store_b64 v[6:7], v[4:5], off
	s_and_not1_b32 exec_lo, exec_lo, s22
	s_cbranch_execnz .LBB22_13
.LBB22_14:                              ;   in Loop: Header=BB22_11 Depth=1
	s_or_b32 exec_lo, exec_lo, s12
	s_delay_alu instid0(SALU_CYCLE_1)
	s_and_not1_b32 vcc_lo, exec_lo, s4
	s_mov_b32 s1, -1
	s_waitcnt_vscnt null, 0x0
	s_barrier
	buffer_gl0_inv
	s_cbranch_vccnz .LBB22_19
; %bb.15:                               ;   in Loop: Header=BB22_11 Depth=1
	s_and_saveexec_b32 s21, s2
	s_cbranch_execz .LBB22_18
; %bb.16:                               ;   in Loop: Header=BB22_11 Depth=1
	s_load_b32 s1, s[10:11], 0xc
	v_dual_mov_b32 v1, v3 :: v_dual_mov_b32 v4, v0
	s_mov_b32 s24, 0
	s_waitcnt lgkmcnt(0)
	s_and_b32 s22, s1, 0xffff
	s_delay_alu instid0(SALU_CYCLE_1)
	s_lshl_b32 s23, s22, 1
	s_set_inst_prefetch_distance 0x1
	.p2align	6
.LBB22_17:                              ;   Parent Loop BB22_11 Depth=1
                                        ; =>  This Inner Loop Header: Depth=2
	v_ashrrev_i32_e32 v2, 31, v1
	v_add_nc_u32_e32 v9, s15, v4
	s_mov_b32 s12, s8
	s_delay_alu instid0(VALU_DEP_2) | instskip(NEXT) | instid1(VALU_DEP_2)
	v_lshlrev_b64 v[5:6], 3, v[1:2]
	v_ashrrev_i32_e32 v10, 31, v9
	v_add_nc_u32_e32 v1, s23, v1
	s_delay_alu instid0(VALU_DEP_2) | instskip(NEXT) | instid1(VALU_DEP_4)
	v_lshlrev_b64 v[9:10], 3, v[9:10]
	v_add_co_u32 v5, vcc_lo, s3, v5
	v_add_co_ci_u32_e32 v6, vcc_lo, s14, v6, vcc_lo
	s_delay_alu instid0(VALU_DEP_3)
	v_add_co_u32 v9, vcc_lo, s6, v9
	global_load_b64 v[7:8], v[5:6], off
	v_add_co_ci_u32_e32 v10, vcc_lo, s16, v10, vcc_lo
	s_waitcnt vmcnt(0)
	v_mul_f64 v[7:8], v[7:8], s[8:9]
	global_store_b64 v[9:10], v[7:8], off
	global_load_b64 v[5:6], v[5:6], off offset:8
	v_add_nc_u32_e32 v7, s19, v4
	v_add_nc_u32_e32 v4, s22, v4
	s_delay_alu instid0(VALU_DEP_2) | instskip(NEXT) | instid1(VALU_DEP_2)
	v_ashrrev_i32_e32 v8, 31, v7
	v_cmp_le_i32_e32 vcc_lo, s5, v4
	s_delay_alu instid0(VALU_DEP_2) | instskip(SKIP_1) | instid1(VALU_DEP_1)
	v_lshlrev_b64 v[7:8], 3, v[7:8]
	s_or_b32 s24, vcc_lo, s24
	v_add_co_u32 v7, s1, s6, v7
	s_delay_alu instid0(VALU_DEP_1)
	v_add_co_ci_u32_e64 v8, s1, s16, v8, s1
	s_waitcnt vmcnt(0)
	v_mul_f64 v[5:6], v[5:6], s[12:13]
	global_store_b64 v[7:8], v[5:6], off
	s_and_not1_b32 exec_lo, exec_lo, s24
	s_cbranch_execnz .LBB22_17
.LBB22_18:                              ;   in Loop: Header=BB22_11 Depth=1
	s_set_inst_prefetch_distance 0x2
	s_or_b32 exec_lo, exec_lo, s21
	s_mov_b32 s1, 0
.LBB22_19:                              ;   in Loop: Header=BB22_11 Depth=1
	s_delay_alu instid0(SALU_CYCLE_1)
	s_and_not1_b32 vcc_lo, exec_lo, s1
	s_cbranch_vccnz .LBB22_10
; %bb.20:                               ;   in Loop: Header=BB22_11 Depth=1
	s_and_saveexec_b32 s21, s2
	s_cbranch_execz .LBB22_9
; %bb.21:                               ;   in Loop: Header=BB22_11 Depth=1
	s_load_b32 s1, s[10:11], 0xc
	v_dual_mov_b32 v1, v3 :: v_dual_mov_b32 v4, v0
	s_mov_b32 s24, 0
	s_waitcnt lgkmcnt(0)
	s_and_b32 s22, s1, 0xffff
	s_delay_alu instid0(SALU_CYCLE_1)
	s_lshl_b32 s23, s22, 1
	s_set_inst_prefetch_distance 0x1
	.p2align	6
.LBB22_22:                              ;   Parent Loop BB22_11 Depth=1
                                        ; =>  This Inner Loop Header: Depth=2
	v_ashrrev_i32_e32 v2, 31, v1
	v_add_nc_u32_e32 v9, s15, v4
	s_mov_b32 s12, s8
	s_delay_alu instid0(VALU_DEP_2) | instskip(NEXT) | instid1(VALU_DEP_2)
	v_lshlrev_b64 v[5:6], 3, v[1:2]
	v_ashrrev_i32_e32 v10, 31, v9
	v_add_nc_u32_e32 v1, s23, v1
	s_delay_alu instid0(VALU_DEP_2) | instskip(NEXT) | instid1(VALU_DEP_4)
	v_lshlrev_b64 v[9:10], 3, v[9:10]
	v_add_co_u32 v5, vcc_lo, s3, v5
	v_add_co_ci_u32_e32 v6, vcc_lo, s14, v6, vcc_lo
	s_delay_alu instid0(VALU_DEP_3)
	v_add_co_u32 v9, vcc_lo, s6, v9
	global_load_b64 v[7:8], v[5:6], off offset:8
	v_add_co_ci_u32_e32 v10, vcc_lo, s16, v10, vcc_lo
	s_waitcnt vmcnt(0)
	v_mul_f64 v[7:8], v[7:8], s[8:9]
	global_store_b64 v[9:10], v[7:8], off
	global_load_b64 v[5:6], v[5:6], off
	v_add_nc_u32_e32 v7, s19, v4
	v_add_nc_u32_e32 v4, s22, v4
	s_delay_alu instid0(VALU_DEP_2) | instskip(NEXT) | instid1(VALU_DEP_2)
	v_ashrrev_i32_e32 v8, 31, v7
	v_cmp_le_i32_e32 vcc_lo, s5, v4
	s_delay_alu instid0(VALU_DEP_2) | instskip(SKIP_1) | instid1(VALU_DEP_1)
	v_lshlrev_b64 v[7:8], 3, v[7:8]
	s_or_b32 s24, vcc_lo, s24
	v_add_co_u32 v7, s1, s6, v7
	s_delay_alu instid0(VALU_DEP_1)
	v_add_co_ci_u32_e64 v8, s1, s16, v8, s1
	s_waitcnt vmcnt(0)
	v_mul_f64 v[5:6], v[5:6], s[12:13]
	global_store_b64 v[7:8], v[5:6], off
	s_and_not1_b32 exec_lo, exec_lo, s24
	s_cbranch_execnz .LBB22_22
	s_branch .LBB22_9
.LBB22_23:
	s_endpgm
	.section	.rodata,"a",@progbits
	.p2align	6, 0x0
	.amdhsa_kernel _ZN9rocsolver6v33100L19bdsvdx_reorder_vectIdPdEEv13rocblas_fill_iPiPT_lT0_iilS6_
		.amdhsa_group_segment_fixed_size 0
		.amdhsa_private_segment_fixed_size 0
		.amdhsa_kernarg_size 320
		.amdhsa_user_sgpr_count 14
		.amdhsa_user_sgpr_dispatch_ptr 0
		.amdhsa_user_sgpr_queue_ptr 0
		.amdhsa_user_sgpr_kernarg_segment_ptr 1
		.amdhsa_user_sgpr_dispatch_id 0
		.amdhsa_user_sgpr_private_segment_size 0
		.amdhsa_wavefront_size32 1
		.amdhsa_uses_dynamic_stack 0
		.amdhsa_enable_private_segment 0
		.amdhsa_system_sgpr_workgroup_id_x 1
		.amdhsa_system_sgpr_workgroup_id_y 1
		.amdhsa_system_sgpr_workgroup_id_z 0
		.amdhsa_system_sgpr_workgroup_info 0
		.amdhsa_system_vgpr_workitem_id 0
		.amdhsa_next_free_vgpr 11
		.amdhsa_next_free_sgpr 25
		.amdhsa_reserve_vcc 1
		.amdhsa_float_round_mode_32 0
		.amdhsa_float_round_mode_16_64 0
		.amdhsa_float_denorm_mode_32 3
		.amdhsa_float_denorm_mode_16_64 3
		.amdhsa_dx10_clamp 1
		.amdhsa_ieee_mode 1
		.amdhsa_fp16_overflow 0
		.amdhsa_workgroup_processor_mode 1
		.amdhsa_memory_ordered 1
		.amdhsa_forward_progress 0
		.amdhsa_shared_vgpr_count 0
		.amdhsa_exception_fp_ieee_invalid_op 0
		.amdhsa_exception_fp_denorm_src 0
		.amdhsa_exception_fp_ieee_div_zero 0
		.amdhsa_exception_fp_ieee_overflow 0
		.amdhsa_exception_fp_ieee_underflow 0
		.amdhsa_exception_fp_ieee_inexact 0
		.amdhsa_exception_int_div_zero 0
	.end_amdhsa_kernel
	.section	.text._ZN9rocsolver6v33100L19bdsvdx_reorder_vectIdPdEEv13rocblas_fill_iPiPT_lT0_iilS6_,"axG",@progbits,_ZN9rocsolver6v33100L19bdsvdx_reorder_vectIdPdEEv13rocblas_fill_iPiPT_lT0_iilS6_,comdat
.Lfunc_end22:
	.size	_ZN9rocsolver6v33100L19bdsvdx_reorder_vectIdPdEEv13rocblas_fill_iPiPT_lT0_iilS6_, .Lfunc_end22-_ZN9rocsolver6v33100L19bdsvdx_reorder_vectIdPdEEv13rocblas_fill_iPiPT_lT0_iilS6_
                                        ; -- End function
	.section	.AMDGPU.csdata,"",@progbits
; Kernel info:
; codeLenInByte = 1248
; NumSgprs: 27
; NumVgprs: 11
; ScratchSize: 0
; MemoryBound: 0
; FloatMode: 240
; IeeeMode: 1
; LDSByteSize: 0 bytes/workgroup (compile time only)
; SGPRBlocks: 3
; VGPRBlocks: 1
; NumSGPRsForWavesPerEU: 27
; NumVGPRsForWavesPerEU: 11
; Occupancy: 16
; WaveLimiterHint : 0
; COMPUTE_PGM_RSRC2:SCRATCH_EN: 0
; COMPUTE_PGM_RSRC2:USER_SGPR: 14
; COMPUTE_PGM_RSRC2:TRAP_HANDLER: 0
; COMPUTE_PGM_RSRC2:TGID_X_EN: 1
; COMPUTE_PGM_RSRC2:TGID_Y_EN: 1
; COMPUTE_PGM_RSRC2:TGID_Z_EN: 0
; COMPUTE_PGM_RSRC2:TIDIG_COMP_CNT: 0
	.text
	.p2alignl 7, 3214868480
	.fill 96, 4, 3214868480
	.type	__const.__assert_fail.fmt,@object ; @__const.__assert_fail.fmt
	.section	.rodata.str1.16,"aMS",@progbits,1
	.p2align	4, 0x0
__const.__assert_fail.fmt:
	.asciz	"%s:%u: %s: Device-side assertion `%s' failed.\n"
	.size	__const.__assert_fail.fmt, 47

	.type	.str.2,@object                  ; @.str.2
	.section	.rodata.str1.1,"aMS",@progbits,1
.str.2:
	.asciz	"nev <= n"
	.size	.str.2, 9

	.type	.str.3,@object                  ; @.str.3
.str.3:
	.asciz	"/root/src/amdgpu-assembly/repos/ROCm__rocSOLVER/library/src/lapack/roclapack_syevx_heevx.hpp"
	.size	.str.3, 93

	.type	__PRETTY_FUNCTION__._ZN9rocsolver6v33100L15syevx_sort_eigsIffPfEEviPiPT0_lT1_iilS3_lS3_S3_,@object ; @__PRETTY_FUNCTION__._ZN9rocsolver6v33100L15syevx_sort_eigsIffPfEEviPiPT0_lT1_iilS3_lS3_S3_
__PRETTY_FUNCTION__._ZN9rocsolver6v33100L15syevx_sort_eigsIffPfEEviPiPT0_lT1_iilS3_lS3_S3_:
	.asciz	"void rocsolver::syevx_sort_eigs(const rocblas_int, rocblas_int *, S *, const rocblas_stride, U, const rocblas_int, const rocblas_int, const rocblas_stride, rocblas_int *, const rocblas_stride, rocblas_int *, rocblas_int *) [T = float, S = float, U = float *]"
	.size	__PRETTY_FUNCTION__._ZN9rocsolver6v33100L15syevx_sort_eigsIffPfEEviPiPT0_lT1_iilS3_lS3_S3_, 259

	.type	.str.4,@object                  ; @.str.4
.str.4:
	.asciz	"isplit_map != nullptr"
	.size	.str.4, 22

	.type	.str.5,@object                  ; @.str.5
.str.5:
	.asciz	"std::isnan(a[k]) || std::isnan(a[k + 1]) || a[k] <= a[k + 1]"
	.size	.str.5, 61

	.type	.str.6,@object                  ; @.str.6
.str.6:
	.asciz	"/root/src/amdgpu-assembly/repos/ROCm__rocSOLVER/library/src/include/lib_device_helpers.hpp"
	.size	.str.6, 91

	.type	__PRETTY_FUNCTION__._ZN9rocsolver6v33100L20shell_sort_ascendingIfiEEvT0_PT_PS2_,@object ; @__PRETTY_FUNCTION__._ZN9rocsolver6v33100L20shell_sort_ascendingIfiEEvT0_PT_PS2_
__PRETTY_FUNCTION__._ZN9rocsolver6v33100L20shell_sort_ascendingIfiEEvT0_PT_PS2_:
	.asciz	"void rocsolver::shell_sort_ascending(const I, S *, I *) [S = float, I = int]"
	.size	__PRETTY_FUNCTION__._ZN9rocsolver6v33100L20shell_sort_ascendingIfiEEvT0_PT_PS2_, 77

	.type	.str.8,@object                  ; @.str.8
.str.8:
	.asciz	"map[k] == k"
	.size	.str.8, 12

	.type	__PRETTY_FUNCTION__._ZN9rocsolver6v33100L18syevx_permute_swapIfEEviiiPiPT_iS2_,@object ; @__PRETTY_FUNCTION__._ZN9rocsolver6v33100L18syevx_permute_swapIfEEviiiPiPT_iS2_
__PRETTY_FUNCTION__._ZN9rocsolver6v33100L18syevx_permute_swapIfEEviiiPiPT_iS2_:
	.asciz	"void rocsolver::syevx_permute_swap(rocblas_int, rocblas_int, rocblas_int, rocblas_int *, T *, rocblas_int, rocblas_int *) [T = float]"
	.size	__PRETTY_FUNCTION__._ZN9rocsolver6v33100L18syevx_permute_swapIfEEviiiPiPT_iS2_, 134

	.type	__PRETTY_FUNCTION__._ZN9rocsolver6v33100L15syevx_sort_eigsIddPdEEviPiPT0_lT1_iilS3_lS3_S3_,@object ; @__PRETTY_FUNCTION__._ZN9rocsolver6v33100L15syevx_sort_eigsIddPdEEviPiPT0_lT1_iilS3_lS3_S3_
__PRETTY_FUNCTION__._ZN9rocsolver6v33100L15syevx_sort_eigsIddPdEEviPiPT0_lT1_iilS3_lS3_S3_:
	.asciz	"void rocsolver::syevx_sort_eigs(const rocblas_int, rocblas_int *, S *, const rocblas_stride, U, const rocblas_int, const rocblas_int, const rocblas_stride, rocblas_int *, const rocblas_stride, rocblas_int *, rocblas_int *) [T = double, S = double, U = double *]"
	.size	__PRETTY_FUNCTION__._ZN9rocsolver6v33100L15syevx_sort_eigsIddPdEEviPiPT0_lT1_iilS3_lS3_S3_, 262

	.type	__PRETTY_FUNCTION__._ZN9rocsolver6v33100L20shell_sort_ascendingIdiEEvT0_PT_PS2_,@object ; @__PRETTY_FUNCTION__._ZN9rocsolver6v33100L20shell_sort_ascendingIdiEEvT0_PT_PS2_
__PRETTY_FUNCTION__._ZN9rocsolver6v33100L20shell_sort_ascendingIdiEEvT0_PT_PS2_:
	.asciz	"void rocsolver::shell_sort_ascending(const I, S *, I *) [S = double, I = int]"
	.size	__PRETTY_FUNCTION__._ZN9rocsolver6v33100L20shell_sort_ascendingIdiEEvT0_PT_PS2_, 78

	.type	__PRETTY_FUNCTION__._ZN9rocsolver6v33100L18syevx_permute_swapIdEEviiiPiPT_iS2_,@object ; @__PRETTY_FUNCTION__._ZN9rocsolver6v33100L18syevx_permute_swapIdEEviiiPiPT_iS2_
__PRETTY_FUNCTION__._ZN9rocsolver6v33100L18syevx_permute_swapIdEEviiiPiPT_iS2_:
	.asciz	"void rocsolver::syevx_permute_swap(rocblas_int, rocblas_int, rocblas_int, rocblas_int *, T *, rocblas_int, rocblas_int *) [T = double]"
	.size	__PRETTY_FUNCTION__._ZN9rocsolver6v33100L18syevx_permute_swapIdEEviiiPiPT_iS2_, 135

	.type	__hip_cuid_fa82802a527cabe1,@object ; @__hip_cuid_fa82802a527cabe1
	.section	.bss,"aw",@nobits
	.globl	__hip_cuid_fa82802a527cabe1
__hip_cuid_fa82802a527cabe1:
	.byte	0                               ; 0x0
	.size	__hip_cuid_fa82802a527cabe1, 1

	.ident	"AMD clang version 19.0.0git (https://github.com/RadeonOpenCompute/llvm-project roc-6.4.0 25133 c7fe45cf4b819c5991fe208aaa96edf142730f1d)"
	.section	".note.GNU-stack","",@progbits
	.addrsig
	.addrsig_sym __hip_cuid_fa82802a527cabe1
	.amdgpu_metadata
---
amdhsa.kernels:
  - .args:
      - .address_space:  global
        .offset:         0
        .size:           8
        .value_kind:     global_buffer
      - .offset:         8
        .size:           4
        .value_kind:     by_value
      - .offset:         12
        .size:           4
        .value_kind:     by_value
      - .offset:         16
        .size:           4
        .value_kind:     by_value
      - .offset:         24
        .size:           4
        .value_kind:     hidden_block_count_x
      - .offset:         28
        .size:           4
        .value_kind:     hidden_block_count_y
      - .offset:         32
        .size:           4
        .value_kind:     hidden_block_count_z
      - .offset:         36
        .size:           2
        .value_kind:     hidden_group_size_x
      - .offset:         38
        .size:           2
        .value_kind:     hidden_group_size_y
      - .offset:         40
        .size:           2
        .value_kind:     hidden_group_size_z
      - .offset:         42
        .size:           2
        .value_kind:     hidden_remainder_x
      - .offset:         44
        .size:           2
        .value_kind:     hidden_remainder_y
      - .offset:         46
        .size:           2
        .value_kind:     hidden_remainder_z
      - .offset:         64
        .size:           8
        .value_kind:     hidden_global_offset_x
      - .offset:         72
        .size:           8
        .value_kind:     hidden_global_offset_y
      - .offset:         80
        .size:           8
        .value_kind:     hidden_global_offset_z
      - .offset:         88
        .size:           2
        .value_kind:     hidden_grid_dims
    .group_segment_fixed_size: 0
    .kernarg_segment_align: 8
    .kernarg_segment_size: 280
    .language:       OpenCL C
    .language_version:
      - 2
      - 0
    .max_flat_workgroup_size: 1024
    .name:           _ZN9rocsolver6v33100L10reset_infoIiiiEEvPT_T0_T1_S4_
    .private_segment_fixed_size: 0
    .sgpr_count:     18
    .sgpr_spill_count: 0
    .symbol:         _ZN9rocsolver6v33100L10reset_infoIiiiEEvPT_T0_T1_S4_.kd
    .uniform_work_group_size: 1
    .uses_dynamic_stack: false
    .vgpr_count:     6
    .vgpr_spill_count: 0
    .wavefront_size: 32
    .workgroup_processor_mode: 1
  - .args:
      - .address_space:  global
        .offset:         0
        .size:           8
        .value_kind:     global_buffer
      - .offset:         8
        .size:           4
        .value_kind:     by_value
      - .offset:         12
        .size:           4
        .value_kind:     by_value
      - .offset:         16
        .size:           4
        .value_kind:     by_value
      - .offset:         24
        .size:           4
        .value_kind:     hidden_block_count_x
      - .offset:         28
        .size:           4
        .value_kind:     hidden_block_count_y
      - .offset:         32
        .size:           4
        .value_kind:     hidden_block_count_z
      - .offset:         36
        .size:           2
        .value_kind:     hidden_group_size_x
      - .offset:         38
        .size:           2
        .value_kind:     hidden_group_size_y
      - .offset:         40
        .size:           2
        .value_kind:     hidden_group_size_z
      - .offset:         42
        .size:           2
        .value_kind:     hidden_remainder_x
      - .offset:         44
        .size:           2
        .value_kind:     hidden_remainder_y
      - .offset:         46
        .size:           2
        .value_kind:     hidden_remainder_z
      - .offset:         64
        .size:           8
        .value_kind:     hidden_global_offset_x
      - .offset:         72
        .size:           8
        .value_kind:     hidden_global_offset_y
      - .offset:         80
        .size:           8
        .value_kind:     hidden_global_offset_z
      - .offset:         88
        .size:           2
        .value_kind:     hidden_grid_dims
    .group_segment_fixed_size: 0
    .kernarg_segment_align: 8
    .kernarg_segment_size: 280
    .language:       OpenCL C
    .language_version:
      - 2
      - 0
    .max_flat_workgroup_size: 1024
    .name:           _ZN9rocsolver6v33100L10reset_infoIfiiEEvPT_T0_T1_S4_
    .private_segment_fixed_size: 0
    .sgpr_count:     18
    .sgpr_spill_count: 0
    .symbol:         _ZN9rocsolver6v33100L10reset_infoIfiiEEvPT_T0_T1_S4_.kd
    .uniform_work_group_size: 1
    .uses_dynamic_stack: false
    .vgpr_count:     5
    .vgpr_spill_count: 0
    .wavefront_size: 32
    .workgroup_processor_mode: 1
  - .args:
      - .offset:         0
        .size:           4
        .value_kind:     by_value
      - .offset:         4
        .size:           4
        .value_kind:     by_value
      - .address_space:  global
        .offset:         8
        .size:           8
        .value_kind:     global_buffer
      - .offset:         16
        .size:           4
        .value_kind:     by_value
      - .offset:         20
        .size:           4
        .value_kind:     by_value
      - .offset:         24
        .size:           8
        .value_kind:     by_value
      - .address_space:  global
        .offset:         32
        .size:           8
        .value_kind:     global_buffer
      - .offset:         40
        .size:           4
        .value_kind:     by_value
      - .offset:         44
        .size:           4
        .value_kind:     by_value
      - .offset:         48
        .size:           8
        .value_kind:     by_value
      - .offset:         56
        .size:           1
        .value_kind:     by_value
      - .offset:         60
        .size:           4
        .value_kind:     by_value
      - .offset:         64
        .size:           4
        .value_kind:     by_value
      - .offset:         72
        .size:           4
        .value_kind:     hidden_block_count_x
      - .offset:         76
        .size:           4
        .value_kind:     hidden_block_count_y
      - .offset:         80
        .size:           4
        .value_kind:     hidden_block_count_z
      - .offset:         84
        .size:           2
        .value_kind:     hidden_group_size_x
      - .offset:         86
        .size:           2
        .value_kind:     hidden_group_size_y
      - .offset:         88
        .size:           2
        .value_kind:     hidden_group_size_z
      - .offset:         90
        .size:           2
        .value_kind:     hidden_remainder_x
      - .offset:         92
        .size:           2
        .value_kind:     hidden_remainder_y
      - .offset:         94
        .size:           2
        .value_kind:     hidden_remainder_z
      - .offset:         112
        .size:           8
        .value_kind:     hidden_global_offset_x
      - .offset:         120
        .size:           8
        .value_kind:     hidden_global_offset_y
      - .offset:         128
        .size:           8
        .value_kind:     hidden_global_offset_z
      - .offset:         136
        .size:           2
        .value_kind:     hidden_grid_dims
    .group_segment_fixed_size: 0
    .kernarg_segment_align: 8
    .kernarg_segment_size: 328
    .language:       OpenCL C
    .language_version:
      - 2
      - 0
    .max_flat_workgroup_size: 1024
    .name:           _ZN9rocsolver6v33100L8copy_matIfPfS2_NS0_7no_maskEEEviiT0_iilT1_iilT2_13rocblas_fill_17rocblas_diagonal_
    .private_segment_fixed_size: 0
    .sgpr_count:     18
    .sgpr_spill_count: 0
    .symbol:         _ZN9rocsolver6v33100L8copy_matIfPfS2_NS0_7no_maskEEEviiT0_iilT1_iilT2_13rocblas_fill_17rocblas_diagonal_.kd
    .uniform_work_group_size: 1
    .uses_dynamic_stack: false
    .vgpr_count:     6
    .vgpr_spill_count: 0
    .wavefront_size: 32
    .workgroup_processor_mode: 1
  - .args:
      - .offset:         0
        .size:           4
        .value_kind:     by_value
      - .offset:         4
        .size:           4
        .value_kind:     by_value
      - .offset:         8
        .size:           4
        .value_kind:     by_value
      - .address_space:  global
        .offset:         16
        .size:           8
        .value_kind:     global_buffer
      - .offset:         24
        .size:           4
        .value_kind:     by_value
      - .offset:         32
        .size:           8
        .value_kind:     by_value
      - .address_space:  global
        .offset:         40
        .size:           8
        .value_kind:     global_buffer
      - .address_space:  global
        .offset:         48
        .size:           8
        .value_kind:     global_buffer
      - .address_space:  global
        .offset:         56
        .size:           8
        .value_kind:     global_buffer
      - .offset:         64
        .size:           8
        .value_kind:     by_value
      - .address_space:  global
        .offset:         72
        .size:           8
        .value_kind:     global_buffer
      - .offset:         80
        .size:           8
        .value_kind:     by_value
      - .address_space:  global
        .offset:         88
        .size:           8
        .value_kind:     global_buffer
      - .offset:         96
        .size:           8
        .value_kind:     by_value
      - .offset:         104
        .size:           4
        .value_kind:     by_value
      - .offset:         112
        .size:           4
        .value_kind:     hidden_block_count_x
      - .offset:         116
        .size:           4
        .value_kind:     hidden_block_count_y
      - .offset:         120
        .size:           4
        .value_kind:     hidden_block_count_z
      - .offset:         124
        .size:           2
        .value_kind:     hidden_group_size_x
      - .offset:         126
        .size:           2
        .value_kind:     hidden_group_size_y
      - .offset:         128
        .size:           2
        .value_kind:     hidden_group_size_z
      - .offset:         130
        .size:           2
        .value_kind:     hidden_remainder_x
      - .offset:         132
        .size:           2
        .value_kind:     hidden_remainder_y
      - .offset:         134
        .size:           2
        .value_kind:     hidden_remainder_z
      - .offset:         152
        .size:           8
        .value_kind:     hidden_global_offset_x
      - .offset:         160
        .size:           8
        .value_kind:     hidden_global_offset_y
      - .offset:         168
        .size:           8
        .value_kind:     hidden_global_offset_z
      - .offset:         176
        .size:           2
        .value_kind:     hidden_grid_dims
    .group_segment_fixed_size: 0
    .kernarg_segment_align: 8
    .kernarg_segment_size: 368
    .language:       OpenCL C
    .language_version:
      - 2
      - 0
    .max_flat_workgroup_size: 1024
    .name:           _ZN9rocsolver6v33100L18stebz_case1_kernelIfPfEEv15rocblas_erange_T_S4_T0_ilPiS6_PS4_lS6_lS6_li
    .private_segment_fixed_size: 0
    .sgpr_count:     24
    .sgpr_spill_count: 0
    .symbol:         _ZN9rocsolver6v33100L18stebz_case1_kernelIfPfEEv15rocblas_erange_T_S4_T0_ilPiS6_PS4_lS6_lS6_li.kd
    .uniform_work_group_size: 1
    .uses_dynamic_stack: false
    .vgpr_count:     12
    .vgpr_spill_count: 0
    .wavefront_size: 32
    .workgroup_processor_mode: 1
  - .args:
      - .offset:         0
        .size:           4
        .value_kind:     by_value
      - .offset:         4
        .size:           4
        .value_kind:     by_value
      - .offset:         8
        .size:           4
        .value_kind:     by_value
      - .offset:         12
        .size:           4
        .value_kind:     by_value
      - .offset:         16
        .size:           4
        .value_kind:     by_value
      - .offset:         20
        .size:           4
        .value_kind:     by_value
      - .address_space:  global
        .offset:         24
        .size:           8
        .value_kind:     global_buffer
      - .offset:         32
        .size:           4
        .value_kind:     by_value
      - .offset:         36
        .size:           4
        .value_kind:     by_value
      - .address_space:  global
        .offset:         40
        .size:           8
        .value_kind:     global_buffer
      - .offset:         48
        .size:           4
        .value_kind:     by_value
      - .offset:         52
        .size:           4
        .value_kind:     by_value
      - .address_space:  global
        .offset:         56
        .size:           8
        .value_kind:     global_buffer
      - .address_space:  global
        .offset:         64
        .size:           8
        .value_kind:     global_buffer
      - .offset:         72
        .size:           8
        .value_kind:     by_value
      - .address_space:  global
        .offset:         80
        .size:           8
        .value_kind:     global_buffer
      - .offset:         88
        .size:           8
        .value_kind:     by_value
      - .address_space:  global
        .offset:         96
        .size:           8
        .value_kind:     global_buffer
      - .address_space:  global
        .offset:         104
        .size:           8
        .value_kind:     global_buffer
      - .address_space:  global
        .offset:         112
        .size:           8
        .value_kind:     global_buffer
      - .address_space:  global
        .offset:         120
        .size:           8
        .value_kind:     global_buffer
      - .address_space:  global
        .offset:         128
        .size:           8
        .value_kind:     global_buffer
      - .address_space:  global
        .offset:         136
        .size:           8
        .value_kind:     global_buffer
      - .offset:         144
        .size:           4
        .value_kind:     by_value
      - .offset:         148
        .size:           4
        .value_kind:     by_value
    .group_segment_fixed_size: 2048
    .kernarg_segment_align: 8
    .kernarg_segment_size: 152
    .language:       OpenCL C
    .language_version:
      - 2
      - 0
    .max_flat_workgroup_size: 256
    .name:           _ZN9rocsolver6v33100L22stebz_splitting_kernelIfPfEEv15rocblas_erange_iT_S4_iiT0_iiS5_iiPiPS4_lS6_lS6_S7_S7_S7_S7_S6_S4_S4_
    .private_segment_fixed_size: 0
    .sgpr_count:     54
    .sgpr_spill_count: 0
    .symbol:         _ZN9rocsolver6v33100L22stebz_splitting_kernelIfPfEEv15rocblas_erange_iT_S4_iiT0_iiS5_iiPiPS4_lS6_lS6_S7_S7_S7_S7_S6_S4_S4_.kd
    .uniform_work_group_size: 1
    .uses_dynamic_stack: false
    .vgpr_count:     20
    .vgpr_spill_count: 0
    .wavefront_size: 32
    .workgroup_processor_mode: 1
  - .args:
      - .offset:         0
        .size:           4
        .value_kind:     by_value
      - .offset:         4
        .size:           4
        .value_kind:     by_value
      - .offset:         8
        .size:           4
        .value_kind:     by_value
      - .address_space:  global
        .offset:         16
        .size:           8
        .value_kind:     global_buffer
      - .offset:         24
        .size:           4
        .value_kind:     by_value
      - .offset:         28
        .size:           4
        .value_kind:     by_value
      - .address_space:  global
        .offset:         32
        .size:           8
        .value_kind:     global_buffer
      - .offset:         40
        .size:           4
        .value_kind:     by_value
      - .offset:         44
        .size:           4
        .value_kind:     by_value
      - .address_space:  global
        .offset:         48
        .size:           8
        .value_kind:     global_buffer
      - .address_space:  global
        .offset:         56
        .size:           8
        .value_kind:     global_buffer
      - .offset:         64
        .size:           8
        .value_kind:     by_value
      - .address_space:  global
        .offset:         72
        .size:           8
        .value_kind:     global_buffer
      - .offset:         80
        .size:           8
        .value_kind:     by_value
      - .address_space:  global
        .offset:         88
        .size:           8
        .value_kind:     global_buffer
      - .offset:         96
        .size:           8
        .value_kind:     by_value
      - .address_space:  global
        .offset:         104
        .size:           8
        .value_kind:     global_buffer
      - .address_space:  global
        .offset:         112
        .size:           8
        .value_kind:     global_buffer
      - .address_space:  global
        .offset:         120
        .size:           8
        .value_kind:     global_buffer
      - .address_space:  global
        .offset:         128
        .size:           8
        .value_kind:     global_buffer
      - .address_space:  global
        .offset:         136
        .size:           8
        .value_kind:     global_buffer
      - .address_space:  global
        .offset:         144
        .size:           8
        .value_kind:     global_buffer
      - .address_space:  global
        .offset:         152
        .size:           8
        .value_kind:     global_buffer
      - .offset:         160
        .size:           4
        .value_kind:     by_value
      - .offset:         164
        .size:           4
        .value_kind:     by_value
    .group_segment_fixed_size: 4616
    .kernarg_segment_align: 8
    .kernarg_segment_size: 168
    .language:       OpenCL C
    .language_version:
      - 2
      - 0
    .max_flat_workgroup_size: 128
    .name:           _ZN9rocsolver6v33100L22stebz_bisection_kernelIfPfEEv15rocblas_erange_iT_T0_iiS5_iiPiPS4_lS6_lS6_lS6_S6_S7_S7_S7_S7_S6_S4_S4_
    .private_segment_fixed_size: 0
    .sgpr_count:     71
    .sgpr_spill_count: 0
    .symbol:         _ZN9rocsolver6v33100L22stebz_bisection_kernelIfPfEEv15rocblas_erange_iT_T0_iiS5_iiPiPS4_lS6_lS6_lS6_S6_S7_S7_S7_S7_S6_S4_S4_.kd
    .uniform_work_group_size: 1
    .uses_dynamic_stack: false
    .vgpr_count:     33
    .vgpr_spill_count: 0
    .wavefront_size: 32
    .workgroup_processor_mode: 1
  - .args:
      - .offset:         0
        .size:           4
        .value_kind:     by_value
      - .offset:         4
        .size:           4
        .value_kind:     by_value
      - .offset:         8
        .size:           4
        .value_kind:     by_value
      - .offset:         12
        .size:           4
        .value_kind:     by_value
      - .offset:         16
        .size:           4
        .value_kind:     by_value
      - .address_space:  global
        .offset:         24
        .size:           8
        .value_kind:     global_buffer
      - .offset:         32
        .size:           4
        .value_kind:     by_value
      - .offset:         36
        .size:           4
        .value_kind:     by_value
      - .address_space:  global
        .offset:         40
        .size:           8
        .value_kind:     global_buffer
      - .address_space:  global
        .offset:         48
        .size:           8
        .value_kind:     global_buffer
      - .address_space:  global
        .offset:         56
        .size:           8
        .value_kind:     global_buffer
      - .offset:         64
        .size:           8
        .value_kind:     by_value
      - .address_space:  global
        .offset:         72
        .size:           8
        .value_kind:     global_buffer
      - .offset:         80
        .size:           8
        .value_kind:     by_value
      - .address_space:  global
        .offset:         88
        .size:           8
        .value_kind:     global_buffer
      - .offset:         96
        .size:           8
        .value_kind:     by_value
      - .offset:         104
        .size:           4
        .value_kind:     by_value
      - .address_space:  global
        .offset:         112
        .size:           8
        .value_kind:     global_buffer
      - .address_space:  global
        .offset:         120
        .size:           8
        .value_kind:     global_buffer
      - .address_space:  global
        .offset:         128
        .size:           8
        .value_kind:     global_buffer
      - .address_space:  global
        .offset:         136
        .size:           8
        .value_kind:     global_buffer
      - .address_space:  global
        .offset:         144
        .size:           8
        .value_kind:     global_buffer
      - .address_space:  global
        .offset:         152
        .size:           8
        .value_kind:     global_buffer
      - .offset:         160
        .size:           4
        .value_kind:     by_value
      - .offset:         168
        .size:           4
        .value_kind:     hidden_block_count_x
      - .offset:         172
        .size:           4
        .value_kind:     hidden_block_count_y
      - .offset:         176
        .size:           4
        .value_kind:     hidden_block_count_z
      - .offset:         180
        .size:           2
        .value_kind:     hidden_group_size_x
      - .offset:         182
        .size:           2
        .value_kind:     hidden_group_size_y
      - .offset:         184
        .size:           2
        .value_kind:     hidden_group_size_z
      - .offset:         186
        .size:           2
        .value_kind:     hidden_remainder_x
      - .offset:         188
        .size:           2
        .value_kind:     hidden_remainder_y
      - .offset:         190
        .size:           2
        .value_kind:     hidden_remainder_z
      - .offset:         208
        .size:           8
        .value_kind:     hidden_global_offset_x
      - .offset:         216
        .size:           8
        .value_kind:     hidden_global_offset_y
      - .offset:         224
        .size:           8
        .value_kind:     hidden_global_offset_z
      - .offset:         232
        .size:           2
        .value_kind:     hidden_grid_dims
    .group_segment_fixed_size: 0
    .kernarg_segment_align: 8
    .kernarg_segment_size: 424
    .language:       OpenCL C
    .language_version:
      - 2
      - 0
    .max_flat_workgroup_size: 1024
    .name:           _ZN9rocsolver6v33100L22stebz_synthesis_kernelIfPfEEv15rocblas_erange_15rocblas_eorder_iiiT0_iiPiS6_PT_lS6_lS6_liS6_S8_S8_S8_S8_S6_S7_
    .private_segment_fixed_size: 0
    .sgpr_count:     36
    .sgpr_spill_count: 0
    .symbol:         _ZN9rocsolver6v33100L22stebz_synthesis_kernelIfPfEEv15rocblas_erange_15rocblas_eorder_iiiT0_iiPiS6_PT_lS6_lS6_liS6_S8_S8_S8_S8_S6_S7_.kd
    .uniform_work_group_size: 1
    .uses_dynamic_stack: false
    .vgpr_count:     42
    .vgpr_spill_count: 0
    .wavefront_size: 32
    .workgroup_processor_mode: 1
  - .args:
      - .offset:         0
        .size:           4
        .value_kind:     by_value
      - .address_space:  global
        .offset:         8
        .size:           8
        .value_kind:     global_buffer
      - .address_space:  global
        .offset:         16
        .size:           8
        .value_kind:     global_buffer
      - .offset:         24
        .size:           8
        .value_kind:     by_value
      - .address_space:  global
        .offset:         32
        .size:           8
        .value_kind:     global_buffer
      - .offset:         40
        .size:           4
        .value_kind:     hidden_block_count_x
      - .offset:         44
        .size:           4
        .value_kind:     hidden_block_count_y
      - .offset:         48
        .size:           4
        .value_kind:     hidden_block_count_z
      - .offset:         52
        .size:           2
        .value_kind:     hidden_group_size_x
      - .offset:         54
        .size:           2
        .value_kind:     hidden_group_size_y
      - .offset:         56
        .size:           2
        .value_kind:     hidden_group_size_z
      - .offset:         58
        .size:           2
        .value_kind:     hidden_remainder_x
      - .offset:         60
        .size:           2
        .value_kind:     hidden_remainder_y
      - .offset:         62
        .size:           2
        .value_kind:     hidden_remainder_z
      - .offset:         80
        .size:           8
        .value_kind:     hidden_global_offset_x
      - .offset:         88
        .size:           8
        .value_kind:     hidden_global_offset_y
      - .offset:         96
        .size:           8
        .value_kind:     hidden_global_offset_z
      - .offset:         104
        .size:           2
        .value_kind:     hidden_grid_dims
    .group_segment_fixed_size: 0
    .kernarg_segment_align: 8
    .kernarg_segment_size: 296
    .language:       OpenCL C
    .language_version:
      - 2
      - 0
    .max_flat_workgroup_size: 1024
    .name:           _ZN9rocsolver6v33100L15bdsvdx_abs_eigsIfEEviPiPT_lS4_
    .private_segment_fixed_size: 0
    .sgpr_count:     18
    .sgpr_spill_count: 0
    .symbol:         _ZN9rocsolver6v33100L15bdsvdx_abs_eigsIfEEviPiPT_lS4_.kd
    .uniform_work_group_size: 1
    .uses_dynamic_stack: false
    .vgpr_count:     4
    .vgpr_spill_count: 0
    .wavefront_size: 32
    .workgroup_processor_mode: 1
  - .args:
      - .offset:         0
        .size:           4
        .value_kind:     by_value
      - .address_space:  global
        .offset:         8
        .size:           8
        .value_kind:     global_buffer
      - .offset:         16
        .size:           8
        .value_kind:     by_value
      - .address_space:  global
        .offset:         24
        .size:           8
        .value_kind:     global_buffer
      - .offset:         32
        .size:           8
        .value_kind:     by_value
      - .address_space:  global
        .offset:         40
        .size:           8
        .value_kind:     global_buffer
      - .address_space:  global
        .offset:         48
        .size:           8
        .value_kind:     global_buffer
      - .offset:         56
        .size:           8
        .value_kind:     by_value
      - .address_space:  global
        .offset:         64
        .size:           8
        .value_kind:     global_buffer
      - .offset:         72
        .size:           8
        .value_kind:     by_value
      - .address_space:  global
        .offset:         80
        .size:           8
        .value_kind:     global_buffer
      - .offset:         88
        .size:           8
        .value_kind:     by_value
      - .address_space:  global
        .offset:         96
        .size:           8
        .value_kind:     global_buffer
      - .offset:         104
        .size:           4
        .value_kind:     by_value
      - .offset:         108
        .size:           4
        .value_kind:     by_value
      - .offset:         112
        .size:           8
        .value_kind:     by_value
      - .address_space:  global
        .offset:         120
        .size:           8
        .value_kind:     global_buffer
      - .offset:         128
        .size:           8
        .value_kind:     by_value
      - .address_space:  global
        .offset:         136
        .size:           8
        .value_kind:     global_buffer
      - .address_space:  global
        .offset:         144
        .size:           8
        .value_kind:     global_buffer
      - .address_space:  global
        .offset:         152
        .size:           8
        .value_kind:     global_buffer
      - .offset:         160
        .size:           4
        .value_kind:     by_value
      - .offset:         164
        .size:           4
        .value_kind:     by_value
    .group_segment_fixed_size: 8
    .kernarg_segment_align: 8
    .kernarg_segment_size: 168
    .language:       OpenCL C
    .language_version:
      - 2
      - 0
    .max_flat_workgroup_size: 256
    .name:           _ZN9rocsolver6v33100L12stein_kernelIffPfEEviPT0_lS4_lPiS4_lS5_lS5_lT1_iilS5_lS5_S4_S5_S3_S3_
    .private_segment_fixed_size: 0
    .sgpr_count:     107
    .sgpr_spill_count: 10
    .symbol:         _ZN9rocsolver6v33100L12stein_kernelIffPfEEviPT0_lS4_lPiS4_lS5_lS5_lT1_iilS5_lS5_S4_S5_S3_S3_.kd
    .uniform_work_group_size: 1
    .uses_dynamic_stack: false
    .vgpr_count:     45
    .vgpr_spill_count: 0
    .wavefront_size: 32
    .workgroup_processor_mode: 1
  - .args:
      - .offset:         0
        .size:           4
        .value_kind:     by_value
      - .address_space:  global
        .offset:         8
        .size:           8
        .value_kind:     global_buffer
      - .address_space:  global
        .offset:         16
        .size:           8
        .value_kind:     global_buffer
      - .offset:         24
        .size:           8
        .value_kind:     by_value
      - .address_space:  global
        .offset:         32
        .size:           8
        .value_kind:     global_buffer
      - .offset:         40
        .size:           4
        .value_kind:     by_value
      - .offset:         44
        .size:           4
        .value_kind:     by_value
      - .offset:         48
        .size:           8
        .value_kind:     by_value
      - .address_space:  global
        .offset:         56
        .size:           8
        .value_kind:     global_buffer
      - .offset:         64
        .size:           8
        .value_kind:     by_value
      - .address_space:  global
        .offset:         72
        .size:           8
        .value_kind:     global_buffer
      - .address_space:  global
        .offset:         80
        .size:           8
        .value_kind:     global_buffer
      - .offset:         88
        .size:           4
        .value_kind:     hidden_block_count_x
      - .offset:         92
        .size:           4
        .value_kind:     hidden_block_count_y
      - .offset:         96
        .size:           4
        .value_kind:     hidden_block_count_z
      - .offset:         100
        .size:           2
        .value_kind:     hidden_group_size_x
      - .offset:         102
        .size:           2
        .value_kind:     hidden_group_size_y
      - .offset:         104
        .size:           2
        .value_kind:     hidden_group_size_z
      - .offset:         106
        .size:           2
        .value_kind:     hidden_remainder_x
      - .offset:         108
        .size:           2
        .value_kind:     hidden_remainder_y
      - .offset:         110
        .size:           2
        .value_kind:     hidden_remainder_z
      - .offset:         128
        .size:           8
        .value_kind:     hidden_global_offset_x
      - .offset:         136
        .size:           8
        .value_kind:     hidden_global_offset_y
      - .offset:         144
        .size:           8
        .value_kind:     hidden_global_offset_z
      - .offset:         152
        .size:           2
        .value_kind:     hidden_grid_dims
      - .offset:         168
        .size:           8
        .value_kind:     hidden_hostcall_buffer
    .group_segment_fixed_size: 0
    .kernarg_segment_align: 8
    .kernarg_segment_size: 344
    .language:       OpenCL C
    .language_version:
      - 2
      - 0
    .max_flat_workgroup_size: 256
    .name:           _ZN9rocsolver6v33100L15syevx_sort_eigsIffPfEEviPiPT0_lT1_iilS3_lS3_S3_
    .private_segment_fixed_size: 64
    .sgpr_count:     52
    .sgpr_spill_count: 0
    .symbol:         _ZN9rocsolver6v33100L15syevx_sort_eigsIffPfEEviPiPT0_lT1_iilS3_lS3_S3_.kd
    .uniform_work_group_size: 1
    .uses_dynamic_stack: false
    .vgpr_count:     53
    .vgpr_spill_count: 0
    .wavefront_size: 32
    .workgroup_processor_mode: 1
  - .args:
      - .offset:         0
        .size:           4
        .value_kind:     by_value
      - .offset:         4
        .size:           4
        .value_kind:     by_value
      - .address_space:  global
        .offset:         8
        .size:           8
        .value_kind:     global_buffer
      - .address_space:  global
        .offset:         16
        .size:           8
        .value_kind:     global_buffer
      - .offset:         24
        .size:           8
        .value_kind:     by_value
      - .address_space:  global
        .offset:         32
        .size:           8
        .value_kind:     global_buffer
      - .offset:         40
        .size:           4
        .value_kind:     by_value
      - .offset:         44
        .size:           4
        .value_kind:     by_value
      - .offset:         48
        .size:           8
        .value_kind:     by_value
      - .address_space:  global
        .offset:         56
        .size:           8
        .value_kind:     global_buffer
      - .offset:         64
        .size:           4
        .value_kind:     hidden_block_count_x
      - .offset:         68
        .size:           4
        .value_kind:     hidden_block_count_y
      - .offset:         72
        .size:           4
        .value_kind:     hidden_block_count_z
      - .offset:         76
        .size:           2
        .value_kind:     hidden_group_size_x
      - .offset:         78
        .size:           2
        .value_kind:     hidden_group_size_y
      - .offset:         80
        .size:           2
        .value_kind:     hidden_group_size_z
      - .offset:         82
        .size:           2
        .value_kind:     hidden_remainder_x
      - .offset:         84
        .size:           2
        .value_kind:     hidden_remainder_y
      - .offset:         86
        .size:           2
        .value_kind:     hidden_remainder_z
      - .offset:         104
        .size:           8
        .value_kind:     hidden_global_offset_x
      - .offset:         112
        .size:           8
        .value_kind:     hidden_global_offset_y
      - .offset:         120
        .size:           8
        .value_kind:     hidden_global_offset_z
      - .offset:         128
        .size:           2
        .value_kind:     hidden_grid_dims
    .group_segment_fixed_size: 0
    .kernarg_segment_align: 8
    .kernarg_segment_size: 320
    .language:       OpenCL C
    .language_version:
      - 2
      - 0
    .max_flat_workgroup_size: 1024
    .name:           _ZN9rocsolver6v33100L19bdsvdx_reorder_vectIfPfEEv13rocblas_fill_iPiPT_lT0_iilS6_
    .private_segment_fixed_size: 0
    .sgpr_count:     24
    .sgpr_spill_count: 0
    .symbol:         _ZN9rocsolver6v33100L19bdsvdx_reorder_vectIfPfEEv13rocblas_fill_iPiPT_lT0_iilS6_.kd
    .uniform_work_group_size: 1
    .uses_dynamic_stack: false
    .vgpr_count:     9
    .vgpr_spill_count: 0
    .wavefront_size: 32
    .workgroup_processor_mode: 1
  - .args:
      - .address_space:  global
        .offset:         0
        .size:           8
        .value_kind:     global_buffer
      - .offset:         8
        .size:           4
        .value_kind:     by_value
      - .offset:         12
        .size:           4
        .value_kind:     by_value
      - .offset:         16
        .size:           4
        .value_kind:     by_value
      - .offset:         24
        .size:           4
        .value_kind:     hidden_block_count_x
      - .offset:         28
        .size:           4
        .value_kind:     hidden_block_count_y
      - .offset:         32
        .size:           4
        .value_kind:     hidden_block_count_z
      - .offset:         36
        .size:           2
        .value_kind:     hidden_group_size_x
      - .offset:         38
        .size:           2
        .value_kind:     hidden_group_size_y
      - .offset:         40
        .size:           2
        .value_kind:     hidden_group_size_z
      - .offset:         42
        .size:           2
        .value_kind:     hidden_remainder_x
      - .offset:         44
        .size:           2
        .value_kind:     hidden_remainder_y
      - .offset:         46
        .size:           2
        .value_kind:     hidden_remainder_z
      - .offset:         64
        .size:           8
        .value_kind:     hidden_global_offset_x
      - .offset:         72
        .size:           8
        .value_kind:     hidden_global_offset_y
      - .offset:         80
        .size:           8
        .value_kind:     hidden_global_offset_z
      - .offset:         88
        .size:           2
        .value_kind:     hidden_grid_dims
    .group_segment_fixed_size: 0
    .kernarg_segment_align: 8
    .kernarg_segment_size: 280
    .language:       OpenCL C
    .language_version:
      - 2
      - 0
    .max_flat_workgroup_size: 1024
    .name:           _ZN9rocsolver6v33100L10reset_infoIdiiEEvPT_T0_T1_S4_
    .private_segment_fixed_size: 0
    .sgpr_count:     18
    .sgpr_spill_count: 0
    .symbol:         _ZN9rocsolver6v33100L10reset_infoIdiiEEvPT_T0_T1_S4_.kd
    .uniform_work_group_size: 1
    .uses_dynamic_stack: false
    .vgpr_count:     6
    .vgpr_spill_count: 0
    .wavefront_size: 32
    .workgroup_processor_mode: 1
  - .args:
      - .offset:         0
        .size:           4
        .value_kind:     by_value
      - .offset:         4
        .size:           4
        .value_kind:     by_value
      - .address_space:  global
        .offset:         8
        .size:           8
        .value_kind:     global_buffer
      - .offset:         16
        .size:           4
        .value_kind:     by_value
      - .offset:         20
        .size:           4
        .value_kind:     by_value
      - .offset:         24
        .size:           8
        .value_kind:     by_value
      - .address_space:  global
        .offset:         32
        .size:           8
        .value_kind:     global_buffer
      - .offset:         40
        .size:           4
        .value_kind:     by_value
      - .offset:         44
        .size:           4
        .value_kind:     by_value
      - .offset:         48
        .size:           8
        .value_kind:     by_value
      - .offset:         56
        .size:           1
        .value_kind:     by_value
      - .offset:         60
        .size:           4
        .value_kind:     by_value
      - .offset:         64
        .size:           4
        .value_kind:     by_value
      - .offset:         72
        .size:           4
        .value_kind:     hidden_block_count_x
      - .offset:         76
        .size:           4
        .value_kind:     hidden_block_count_y
      - .offset:         80
        .size:           4
        .value_kind:     hidden_block_count_z
      - .offset:         84
        .size:           2
        .value_kind:     hidden_group_size_x
      - .offset:         86
        .size:           2
        .value_kind:     hidden_group_size_y
      - .offset:         88
        .size:           2
        .value_kind:     hidden_group_size_z
      - .offset:         90
        .size:           2
        .value_kind:     hidden_remainder_x
      - .offset:         92
        .size:           2
        .value_kind:     hidden_remainder_y
      - .offset:         94
        .size:           2
        .value_kind:     hidden_remainder_z
      - .offset:         112
        .size:           8
        .value_kind:     hidden_global_offset_x
      - .offset:         120
        .size:           8
        .value_kind:     hidden_global_offset_y
      - .offset:         128
        .size:           8
        .value_kind:     hidden_global_offset_z
      - .offset:         136
        .size:           2
        .value_kind:     hidden_grid_dims
    .group_segment_fixed_size: 0
    .kernarg_segment_align: 8
    .kernarg_segment_size: 328
    .language:       OpenCL C
    .language_version:
      - 2
      - 0
    .max_flat_workgroup_size: 1024
    .name:           _ZN9rocsolver6v33100L8copy_matIdPdS2_NS0_7no_maskEEEviiT0_iilT1_iilT2_13rocblas_fill_17rocblas_diagonal_
    .private_segment_fixed_size: 0
    .sgpr_count:     18
    .sgpr_spill_count: 0
    .symbol:         _ZN9rocsolver6v33100L8copy_matIdPdS2_NS0_7no_maskEEEviiT0_iilT1_iilT2_13rocblas_fill_17rocblas_diagonal_.kd
    .uniform_work_group_size: 1
    .uses_dynamic_stack: false
    .vgpr_count:     8
    .vgpr_spill_count: 0
    .wavefront_size: 32
    .workgroup_processor_mode: 1
  - .args:
      - .offset:         0
        .size:           4
        .value_kind:     by_value
      - .offset:         8
        .size:           8
        .value_kind:     by_value
      - .offset:         16
        .size:           8
        .value_kind:     by_value
      - .address_space:  global
        .offset:         24
        .size:           8
        .value_kind:     global_buffer
      - .offset:         32
        .size:           4
        .value_kind:     by_value
      - .offset:         40
        .size:           8
        .value_kind:     by_value
      - .address_space:  global
        .offset:         48
        .size:           8
        .value_kind:     global_buffer
      - .address_space:  global
        .offset:         56
        .size:           8
        .value_kind:     global_buffer
      - .address_space:  global
        .offset:         64
        .size:           8
        .value_kind:     global_buffer
      - .offset:         72
        .size:           8
        .value_kind:     by_value
      - .address_space:  global
        .offset:         80
        .size:           8
        .value_kind:     global_buffer
      - .offset:         88
        .size:           8
        .value_kind:     by_value
      - .address_space:  global
        .offset:         96
        .size:           8
        .value_kind:     global_buffer
      - .offset:         104
        .size:           8
        .value_kind:     by_value
      - .offset:         112
        .size:           4
        .value_kind:     by_value
      - .offset:         120
        .size:           4
        .value_kind:     hidden_block_count_x
      - .offset:         124
        .size:           4
        .value_kind:     hidden_block_count_y
      - .offset:         128
        .size:           4
        .value_kind:     hidden_block_count_z
      - .offset:         132
        .size:           2
        .value_kind:     hidden_group_size_x
      - .offset:         134
        .size:           2
        .value_kind:     hidden_group_size_y
      - .offset:         136
        .size:           2
        .value_kind:     hidden_group_size_z
      - .offset:         138
        .size:           2
        .value_kind:     hidden_remainder_x
      - .offset:         140
        .size:           2
        .value_kind:     hidden_remainder_y
      - .offset:         142
        .size:           2
        .value_kind:     hidden_remainder_z
      - .offset:         160
        .size:           8
        .value_kind:     hidden_global_offset_x
      - .offset:         168
        .size:           8
        .value_kind:     hidden_global_offset_y
      - .offset:         176
        .size:           8
        .value_kind:     hidden_global_offset_z
      - .offset:         184
        .size:           2
        .value_kind:     hidden_grid_dims
    .group_segment_fixed_size: 0
    .kernarg_segment_align: 8
    .kernarg_segment_size: 376
    .language:       OpenCL C
    .language_version:
      - 2
      - 0
    .max_flat_workgroup_size: 1024
    .name:           _ZN9rocsolver6v33100L18stebz_case1_kernelIdPdEEv15rocblas_erange_T_S4_T0_ilPiS6_PS4_lS6_lS6_li
    .private_segment_fixed_size: 0
    .sgpr_count:     26
    .sgpr_spill_count: 0
    .symbol:         _ZN9rocsolver6v33100L18stebz_case1_kernelIdPdEEv15rocblas_erange_T_S4_T0_ilPiS6_PS4_lS6_lS6_li.kd
    .uniform_work_group_size: 1
    .uses_dynamic_stack: false
    .vgpr_count:     13
    .vgpr_spill_count: 0
    .wavefront_size: 32
    .workgroup_processor_mode: 1
  - .args:
      - .offset:         0
        .size:           4
        .value_kind:     by_value
      - .offset:         4
        .size:           4
        .value_kind:     by_value
      - .offset:         8
        .size:           8
        .value_kind:     by_value
      - .offset:         16
        .size:           8
        .value_kind:     by_value
      - .offset:         24
        .size:           4
        .value_kind:     by_value
      - .offset:         28
        .size:           4
        .value_kind:     by_value
      - .address_space:  global
        .offset:         32
        .size:           8
        .value_kind:     global_buffer
      - .offset:         40
        .size:           4
        .value_kind:     by_value
      - .offset:         44
        .size:           4
        .value_kind:     by_value
      - .address_space:  global
        .offset:         48
        .size:           8
        .value_kind:     global_buffer
      - .offset:         56
        .size:           4
        .value_kind:     by_value
      - .offset:         60
        .size:           4
        .value_kind:     by_value
      - .address_space:  global
        .offset:         64
        .size:           8
        .value_kind:     global_buffer
      - .address_space:  global
        .offset:         72
        .size:           8
        .value_kind:     global_buffer
      - .offset:         80
        .size:           8
        .value_kind:     by_value
      - .address_space:  global
        .offset:         88
        .size:           8
        .value_kind:     global_buffer
      - .offset:         96
        .size:           8
        .value_kind:     by_value
      - .address_space:  global
        .offset:         104
        .size:           8
        .value_kind:     global_buffer
      - .address_space:  global
        .offset:         112
        .size:           8
        .value_kind:     global_buffer
      - .address_space:  global
        .offset:         120
        .size:           8
        .value_kind:     global_buffer
      - .address_space:  global
        .offset:         128
        .size:           8
        .value_kind:     global_buffer
      - .address_space:  global
        .offset:         136
        .size:           8
        .value_kind:     global_buffer
      - .address_space:  global
        .offset:         144
        .size:           8
        .value_kind:     global_buffer
      - .offset:         152
        .size:           8
        .value_kind:     by_value
      - .offset:         160
        .size:           8
        .value_kind:     by_value
    .group_segment_fixed_size: 3072
    .kernarg_segment_align: 8
    .kernarg_segment_size: 168
    .language:       OpenCL C
    .language_version:
      - 2
      - 0
    .max_flat_workgroup_size: 256
    .name:           _ZN9rocsolver6v33100L22stebz_splitting_kernelIdPdEEv15rocblas_erange_iT_S4_iiT0_iiS5_iiPiPS4_lS6_lS6_S7_S7_S7_S7_S6_S4_S4_
    .private_segment_fixed_size: 0
    .sgpr_count:     58
    .sgpr_spill_count: 0
    .symbol:         _ZN9rocsolver6v33100L22stebz_splitting_kernelIdPdEEv15rocblas_erange_iT_S4_iiT0_iiS5_iiPiPS4_lS6_lS6_S7_S7_S7_S7_S6_S4_S4_.kd
    .uniform_work_group_size: 1
    .uses_dynamic_stack: false
    .vgpr_count:     26
    .vgpr_spill_count: 0
    .wavefront_size: 32
    .workgroup_processor_mode: 1
  - .args:
      - .offset:         0
        .size:           4
        .value_kind:     by_value
      - .offset:         4
        .size:           4
        .value_kind:     by_value
      - .offset:         8
        .size:           8
        .value_kind:     by_value
      - .address_space:  global
        .offset:         16
        .size:           8
        .value_kind:     global_buffer
      - .offset:         24
        .size:           4
        .value_kind:     by_value
      - .offset:         28
        .size:           4
        .value_kind:     by_value
      - .address_space:  global
        .offset:         32
        .size:           8
        .value_kind:     global_buffer
      - .offset:         40
        .size:           4
        .value_kind:     by_value
      - .offset:         44
        .size:           4
        .value_kind:     by_value
      - .address_space:  global
        .offset:         48
        .size:           8
        .value_kind:     global_buffer
      - .address_space:  global
        .offset:         56
        .size:           8
        .value_kind:     global_buffer
      - .offset:         64
        .size:           8
        .value_kind:     by_value
      - .address_space:  global
        .offset:         72
        .size:           8
        .value_kind:     global_buffer
      - .offset:         80
        .size:           8
        .value_kind:     by_value
      - .address_space:  global
        .offset:         88
        .size:           8
        .value_kind:     global_buffer
      - .offset:         96
        .size:           8
        .value_kind:     by_value
      - .address_space:  global
        .offset:         104
        .size:           8
        .value_kind:     global_buffer
      - .address_space:  global
        .offset:         112
        .size:           8
        .value_kind:     global_buffer
      - .address_space:  global
        .offset:         120
        .size:           8
        .value_kind:     global_buffer
      - .address_space:  global
        .offset:         128
        .size:           8
        .value_kind:     global_buffer
      - .address_space:  global
        .offset:         136
        .size:           8
        .value_kind:     global_buffer
      - .address_space:  global
        .offset:         144
        .size:           8
        .value_kind:     global_buffer
      - .address_space:  global
        .offset:         152
        .size:           8
        .value_kind:     global_buffer
      - .offset:         160
        .size:           8
        .value_kind:     by_value
      - .offset:         168
        .size:           8
        .value_kind:     by_value
    .group_segment_fixed_size: 6664
    .kernarg_segment_align: 8
    .kernarg_segment_size: 176
    .language:       OpenCL C
    .language_version:
      - 2
      - 0
    .max_flat_workgroup_size: 128
    .name:           _ZN9rocsolver6v33100L22stebz_bisection_kernelIdPdEEv15rocblas_erange_iT_T0_iiS5_iiPiPS4_lS6_lS6_lS6_S6_S7_S7_S7_S7_S6_S4_S4_
    .private_segment_fixed_size: 0
    .sgpr_count:     93
    .sgpr_spill_count: 0
    .symbol:         _ZN9rocsolver6v33100L22stebz_bisection_kernelIdPdEEv15rocblas_erange_iT_T0_iiS5_iiPiPS4_lS6_lS6_lS6_S6_S7_S7_S7_S7_S6_S4_S4_.kd
    .uniform_work_group_size: 1
    .uses_dynamic_stack: false
    .vgpr_count:     46
    .vgpr_spill_count: 0
    .wavefront_size: 32
    .workgroup_processor_mode: 1
  - .args:
      - .offset:         0
        .size:           4
        .value_kind:     by_value
      - .offset:         4
        .size:           4
        .value_kind:     by_value
      - .offset:         8
        .size:           4
        .value_kind:     by_value
      - .offset:         12
        .size:           4
        .value_kind:     by_value
      - .offset:         16
        .size:           4
        .value_kind:     by_value
      - .address_space:  global
        .offset:         24
        .size:           8
        .value_kind:     global_buffer
      - .offset:         32
        .size:           4
        .value_kind:     by_value
      - .offset:         36
        .size:           4
        .value_kind:     by_value
      - .address_space:  global
        .offset:         40
        .size:           8
        .value_kind:     global_buffer
      - .address_space:  global
        .offset:         48
        .size:           8
        .value_kind:     global_buffer
      - .address_space:  global
        .offset:         56
        .size:           8
        .value_kind:     global_buffer
      - .offset:         64
        .size:           8
        .value_kind:     by_value
      - .address_space:  global
        .offset:         72
        .size:           8
        .value_kind:     global_buffer
      - .offset:         80
        .size:           8
        .value_kind:     by_value
      - .address_space:  global
        .offset:         88
        .size:           8
        .value_kind:     global_buffer
      - .offset:         96
        .size:           8
        .value_kind:     by_value
      - .offset:         104
        .size:           4
        .value_kind:     by_value
      - .address_space:  global
        .offset:         112
        .size:           8
        .value_kind:     global_buffer
      - .address_space:  global
        .offset:         120
        .size:           8
        .value_kind:     global_buffer
      - .address_space:  global
        .offset:         128
        .size:           8
        .value_kind:     global_buffer
      - .address_space:  global
        .offset:         136
        .size:           8
        .value_kind:     global_buffer
      - .address_space:  global
        .offset:         144
        .size:           8
        .value_kind:     global_buffer
      - .address_space:  global
        .offset:         152
        .size:           8
        .value_kind:     global_buffer
      - .offset:         160
        .size:           8
        .value_kind:     by_value
      - .offset:         168
        .size:           4
        .value_kind:     hidden_block_count_x
      - .offset:         172
        .size:           4
        .value_kind:     hidden_block_count_y
      - .offset:         176
        .size:           4
        .value_kind:     hidden_block_count_z
      - .offset:         180
        .size:           2
        .value_kind:     hidden_group_size_x
      - .offset:         182
        .size:           2
        .value_kind:     hidden_group_size_y
      - .offset:         184
        .size:           2
        .value_kind:     hidden_group_size_z
      - .offset:         186
        .size:           2
        .value_kind:     hidden_remainder_x
      - .offset:         188
        .size:           2
        .value_kind:     hidden_remainder_y
      - .offset:         190
        .size:           2
        .value_kind:     hidden_remainder_z
      - .offset:         208
        .size:           8
        .value_kind:     hidden_global_offset_x
      - .offset:         216
        .size:           8
        .value_kind:     hidden_global_offset_y
      - .offset:         224
        .size:           8
        .value_kind:     hidden_global_offset_z
      - .offset:         232
        .size:           2
        .value_kind:     hidden_grid_dims
    .group_segment_fixed_size: 0
    .kernarg_segment_align: 8
    .kernarg_segment_size: 424
    .language:       OpenCL C
    .language_version:
      - 2
      - 0
    .max_flat_workgroup_size: 1024
    .name:           _ZN9rocsolver6v33100L22stebz_synthesis_kernelIdPdEEv15rocblas_erange_15rocblas_eorder_iiiT0_iiPiS6_PT_lS6_lS6_liS6_S8_S8_S8_S8_S6_S7_
    .private_segment_fixed_size: 0
    .sgpr_count:     36
    .sgpr_spill_count: 0
    .symbol:         _ZN9rocsolver6v33100L22stebz_synthesis_kernelIdPdEEv15rocblas_erange_15rocblas_eorder_iiiT0_iiPiS6_PT_lS6_lS6_liS6_S8_S8_S8_S8_S6_S7_.kd
    .uniform_work_group_size: 1
    .uses_dynamic_stack: false
    .vgpr_count:     51
    .vgpr_spill_count: 0
    .wavefront_size: 32
    .workgroup_processor_mode: 1
  - .args:
      - .offset:         0
        .size:           4
        .value_kind:     by_value
      - .address_space:  global
        .offset:         8
        .size:           8
        .value_kind:     global_buffer
      - .address_space:  global
        .offset:         16
        .size:           8
        .value_kind:     global_buffer
      - .offset:         24
        .size:           8
        .value_kind:     by_value
      - .address_space:  global
        .offset:         32
        .size:           8
        .value_kind:     global_buffer
      - .offset:         40
        .size:           4
        .value_kind:     hidden_block_count_x
      - .offset:         44
        .size:           4
        .value_kind:     hidden_block_count_y
      - .offset:         48
        .size:           4
        .value_kind:     hidden_block_count_z
      - .offset:         52
        .size:           2
        .value_kind:     hidden_group_size_x
      - .offset:         54
        .size:           2
        .value_kind:     hidden_group_size_y
      - .offset:         56
        .size:           2
        .value_kind:     hidden_group_size_z
      - .offset:         58
        .size:           2
        .value_kind:     hidden_remainder_x
      - .offset:         60
        .size:           2
        .value_kind:     hidden_remainder_y
      - .offset:         62
        .size:           2
        .value_kind:     hidden_remainder_z
      - .offset:         80
        .size:           8
        .value_kind:     hidden_global_offset_x
      - .offset:         88
        .size:           8
        .value_kind:     hidden_global_offset_y
      - .offset:         96
        .size:           8
        .value_kind:     hidden_global_offset_z
      - .offset:         104
        .size:           2
        .value_kind:     hidden_grid_dims
    .group_segment_fixed_size: 0
    .kernarg_segment_align: 8
    .kernarg_segment_size: 296
    .language:       OpenCL C
    .language_version:
      - 2
      - 0
    .max_flat_workgroup_size: 1024
    .name:           _ZN9rocsolver6v33100L15bdsvdx_abs_eigsIdEEviPiPT_lS4_
    .private_segment_fixed_size: 0
    .sgpr_count:     18
    .sgpr_spill_count: 0
    .symbol:         _ZN9rocsolver6v33100L15bdsvdx_abs_eigsIdEEviPiPT_lS4_.kd
    .uniform_work_group_size: 1
    .uses_dynamic_stack: false
    .vgpr_count:     4
    .vgpr_spill_count: 0
    .wavefront_size: 32
    .workgroup_processor_mode: 1
  - .args:
      - .offset:         0
        .size:           4
        .value_kind:     by_value
      - .address_space:  global
        .offset:         8
        .size:           8
        .value_kind:     global_buffer
      - .offset:         16
        .size:           8
        .value_kind:     by_value
      - .address_space:  global
        .offset:         24
        .size:           8
        .value_kind:     global_buffer
      - .offset:         32
        .size:           8
        .value_kind:     by_value
      - .address_space:  global
        .offset:         40
        .size:           8
        .value_kind:     global_buffer
      - .address_space:  global
        .offset:         48
        .size:           8
        .value_kind:     global_buffer
      - .offset:         56
        .size:           8
        .value_kind:     by_value
      - .address_space:  global
        .offset:         64
        .size:           8
        .value_kind:     global_buffer
      - .offset:         72
        .size:           8
        .value_kind:     by_value
      - .address_space:  global
        .offset:         80
        .size:           8
        .value_kind:     global_buffer
      - .offset:         88
        .size:           8
        .value_kind:     by_value
      - .address_space:  global
        .offset:         96
        .size:           8
        .value_kind:     global_buffer
      - .offset:         104
        .size:           4
        .value_kind:     by_value
      - .offset:         108
        .size:           4
        .value_kind:     by_value
      - .offset:         112
        .size:           8
        .value_kind:     by_value
      - .address_space:  global
        .offset:         120
        .size:           8
        .value_kind:     global_buffer
      - .offset:         128
        .size:           8
        .value_kind:     by_value
      - .address_space:  global
        .offset:         136
        .size:           8
        .value_kind:     global_buffer
      - .address_space:  global
        .offset:         144
        .size:           8
        .value_kind:     global_buffer
      - .address_space:  global
        .offset:         152
        .size:           8
        .value_kind:     global_buffer
      - .offset:         160
        .size:           8
        .value_kind:     by_value
      - .offset:         168
        .size:           8
        .value_kind:     by_value
    .group_segment_fixed_size: 8
    .kernarg_segment_align: 8
    .kernarg_segment_size: 176
    .language:       OpenCL C
    .language_version:
      - 2
      - 0
    .max_flat_workgroup_size: 256
    .name:           _ZN9rocsolver6v33100L12stein_kernelIddPdEEviPT0_lS4_lPiS4_lS5_lS5_lT1_iilS5_lS5_S4_S5_S3_S3_
    .private_segment_fixed_size: 0
    .sgpr_count:     107
    .sgpr_spill_count: 18
    .symbol:         _ZN9rocsolver6v33100L12stein_kernelIddPdEEviPT0_lS4_lPiS4_lS5_lS5_lT1_iilS5_lS5_S4_S5_S3_S3_.kd
    .uniform_work_group_size: 1
    .uses_dynamic_stack: false
    .vgpr_count:     62
    .vgpr_spill_count: 0
    .wavefront_size: 32
    .workgroup_processor_mode: 1
  - .args:
      - .offset:         0
        .size:           4
        .value_kind:     by_value
      - .address_space:  global
        .offset:         8
        .size:           8
        .value_kind:     global_buffer
      - .address_space:  global
        .offset:         16
        .size:           8
        .value_kind:     global_buffer
      - .offset:         24
        .size:           8
        .value_kind:     by_value
      - .address_space:  global
        .offset:         32
        .size:           8
        .value_kind:     global_buffer
      - .offset:         40
        .size:           4
        .value_kind:     by_value
      - .offset:         44
        .size:           4
        .value_kind:     by_value
      - .offset:         48
        .size:           8
        .value_kind:     by_value
      - .address_space:  global
        .offset:         56
        .size:           8
        .value_kind:     global_buffer
      - .offset:         64
        .size:           8
        .value_kind:     by_value
      - .address_space:  global
        .offset:         72
        .size:           8
        .value_kind:     global_buffer
      - .address_space:  global
        .offset:         80
        .size:           8
        .value_kind:     global_buffer
      - .offset:         88
        .size:           4
        .value_kind:     hidden_block_count_x
      - .offset:         92
        .size:           4
        .value_kind:     hidden_block_count_y
      - .offset:         96
        .size:           4
        .value_kind:     hidden_block_count_z
      - .offset:         100
        .size:           2
        .value_kind:     hidden_group_size_x
      - .offset:         102
        .size:           2
        .value_kind:     hidden_group_size_y
      - .offset:         104
        .size:           2
        .value_kind:     hidden_group_size_z
      - .offset:         106
        .size:           2
        .value_kind:     hidden_remainder_x
      - .offset:         108
        .size:           2
        .value_kind:     hidden_remainder_y
      - .offset:         110
        .size:           2
        .value_kind:     hidden_remainder_z
      - .offset:         128
        .size:           8
        .value_kind:     hidden_global_offset_x
      - .offset:         136
        .size:           8
        .value_kind:     hidden_global_offset_y
      - .offset:         144
        .size:           8
        .value_kind:     hidden_global_offset_z
      - .offset:         152
        .size:           2
        .value_kind:     hidden_grid_dims
      - .offset:         168
        .size:           8
        .value_kind:     hidden_hostcall_buffer
    .group_segment_fixed_size: 0
    .kernarg_segment_align: 8
    .kernarg_segment_size: 344
    .language:       OpenCL C
    .language_version:
      - 2
      - 0
    .max_flat_workgroup_size: 256
    .name:           _ZN9rocsolver6v33100L15syevx_sort_eigsIddPdEEviPiPT0_lT1_iilS3_lS3_S3_
    .private_segment_fixed_size: 64
    .sgpr_count:     52
    .sgpr_spill_count: 0
    .symbol:         _ZN9rocsolver6v33100L15syevx_sort_eigsIddPdEEviPiPT0_lT1_iilS3_lS3_S3_.kd
    .uniform_work_group_size: 1
    .uses_dynamic_stack: false
    .vgpr_count:     53
    .vgpr_spill_count: 0
    .wavefront_size: 32
    .workgroup_processor_mode: 1
  - .args:
      - .offset:         0
        .size:           4
        .value_kind:     by_value
      - .offset:         4
        .size:           4
        .value_kind:     by_value
      - .address_space:  global
        .offset:         8
        .size:           8
        .value_kind:     global_buffer
      - .address_space:  global
        .offset:         16
        .size:           8
        .value_kind:     global_buffer
      - .offset:         24
        .size:           8
        .value_kind:     by_value
      - .address_space:  global
        .offset:         32
        .size:           8
        .value_kind:     global_buffer
      - .offset:         40
        .size:           4
        .value_kind:     by_value
      - .offset:         44
        .size:           4
        .value_kind:     by_value
      - .offset:         48
        .size:           8
        .value_kind:     by_value
      - .address_space:  global
        .offset:         56
        .size:           8
        .value_kind:     global_buffer
      - .offset:         64
        .size:           4
        .value_kind:     hidden_block_count_x
      - .offset:         68
        .size:           4
        .value_kind:     hidden_block_count_y
      - .offset:         72
        .size:           4
        .value_kind:     hidden_block_count_z
      - .offset:         76
        .size:           2
        .value_kind:     hidden_group_size_x
      - .offset:         78
        .size:           2
        .value_kind:     hidden_group_size_y
      - .offset:         80
        .size:           2
        .value_kind:     hidden_group_size_z
      - .offset:         82
        .size:           2
        .value_kind:     hidden_remainder_x
      - .offset:         84
        .size:           2
        .value_kind:     hidden_remainder_y
      - .offset:         86
        .size:           2
        .value_kind:     hidden_remainder_z
      - .offset:         104
        .size:           8
        .value_kind:     hidden_global_offset_x
      - .offset:         112
        .size:           8
        .value_kind:     hidden_global_offset_y
      - .offset:         120
        .size:           8
        .value_kind:     hidden_global_offset_z
      - .offset:         128
        .size:           2
        .value_kind:     hidden_grid_dims
    .group_segment_fixed_size: 0
    .kernarg_segment_align: 8
    .kernarg_segment_size: 320
    .language:       OpenCL C
    .language_version:
      - 2
      - 0
    .max_flat_workgroup_size: 1024
    .name:           _ZN9rocsolver6v33100L19bdsvdx_reorder_vectIdPdEEv13rocblas_fill_iPiPT_lT0_iilS6_
    .private_segment_fixed_size: 0
    .sgpr_count:     27
    .sgpr_spill_count: 0
    .symbol:         _ZN9rocsolver6v33100L19bdsvdx_reorder_vectIdPdEEv13rocblas_fill_iPiPT_lT0_iilS6_.kd
    .uniform_work_group_size: 1
    .uses_dynamic_stack: false
    .vgpr_count:     11
    .vgpr_spill_count: 0
    .wavefront_size: 32
    .workgroup_processor_mode: 1
amdhsa.target:   amdgcn-amd-amdhsa--gfx1100
amdhsa.version:
  - 1
  - 2
...

	.end_amdgpu_metadata
